;; amdgpu-corpus repo=ROCm/rocFFT kind=compiled arch=gfx1030 opt=O3
	.text
	.amdgcn_target "amdgcn-amd-amdhsa--gfx1030"
	.amdhsa_code_object_version 6
	.protected	fft_rtc_fwd_len867_factors_17_17_3_wgs_51_tpt_51_halfLds_half_op_CI_CI_unitstride_sbrr_dirReg ; -- Begin function fft_rtc_fwd_len867_factors_17_17_3_wgs_51_tpt_51_halfLds_half_op_CI_CI_unitstride_sbrr_dirReg
	.globl	fft_rtc_fwd_len867_factors_17_17_3_wgs_51_tpt_51_halfLds_half_op_CI_CI_unitstride_sbrr_dirReg
	.p2align	8
	.type	fft_rtc_fwd_len867_factors_17_17_3_wgs_51_tpt_51_halfLds_half_op_CI_CI_unitstride_sbrr_dirReg,@function
fft_rtc_fwd_len867_factors_17_17_3_wgs_51_tpt_51_halfLds_half_op_CI_CI_unitstride_sbrr_dirReg: ; @fft_rtc_fwd_len867_factors_17_17_3_wgs_51_tpt_51_halfLds_half_op_CI_CI_unitstride_sbrr_dirReg
; %bb.0:
	s_clause 0x2
	s_load_dwordx4 s[8:11], s[4:5], 0x0
	s_load_dwordx4 s[12:15], s[4:5], 0x58
	;; [unrolled: 1-line block ×3, first 2 shown]
	v_mul_u32_u24_e32 v1, 0x506, v0
	v_mov_b32_e32 v3, 0
	v_add_nc_u32_sdwa v5, s6, v1 dst_sel:DWORD dst_unused:UNUSED_PAD src0_sel:DWORD src1_sel:WORD_1
	v_mov_b32_e32 v1, 0
	v_mov_b32_e32 v6, v3
	v_mov_b32_e32 v2, 0
	s_waitcnt lgkmcnt(0)
	v_cmp_lt_u64_e64 s0, s[10:11], 2
	s_and_b32 vcc_lo, exec_lo, s0
	s_cbranch_vccnz .LBB0_8
; %bb.1:
	s_load_dwordx2 s[0:1], s[4:5], 0x10
	v_mov_b32_e32 v1, 0
	v_mov_b32_e32 v2, 0
	s_add_u32 s2, s18, 8
	s_addc_u32 s3, s19, 0
	s_add_u32 s6, s16, 8
	s_addc_u32 s7, s17, 0
	v_mov_b32_e32 v17, v2
	v_mov_b32_e32 v16, v1
	s_mov_b64 s[22:23], 1
	s_waitcnt lgkmcnt(0)
	s_add_u32 s20, s0, 8
	s_addc_u32 s21, s1, 0
.LBB0_2:                                ; =>This Inner Loop Header: Depth=1
	s_load_dwordx2 s[24:25], s[20:21], 0x0
                                        ; implicit-def: $vgpr18_vgpr19
	s_mov_b32 s0, exec_lo
	s_waitcnt lgkmcnt(0)
	v_or_b32_e32 v4, s25, v6
	v_cmpx_ne_u64_e32 0, v[3:4]
	s_xor_b32 s1, exec_lo, s0
	s_cbranch_execz .LBB0_4
; %bb.3:                                ;   in Loop: Header=BB0_2 Depth=1
	v_cvt_f32_u32_e32 v4, s24
	v_cvt_f32_u32_e32 v7, s25
	s_sub_u32 s0, 0, s24
	s_subb_u32 s26, 0, s25
	v_fmac_f32_e32 v4, 0x4f800000, v7
	v_rcp_f32_e32 v4, v4
	v_mul_f32_e32 v4, 0x5f7ffffc, v4
	v_mul_f32_e32 v7, 0x2f800000, v4
	v_trunc_f32_e32 v7, v7
	v_fmac_f32_e32 v4, 0xcf800000, v7
	v_cvt_u32_f32_e32 v7, v7
	v_cvt_u32_f32_e32 v4, v4
	v_mul_lo_u32 v8, s0, v7
	v_mul_hi_u32 v9, s0, v4
	v_mul_lo_u32 v10, s26, v4
	v_add_nc_u32_e32 v8, v9, v8
	v_mul_lo_u32 v9, s0, v4
	v_add_nc_u32_e32 v8, v8, v10
	v_mul_hi_u32 v10, v4, v9
	v_mul_lo_u32 v11, v4, v8
	v_mul_hi_u32 v12, v4, v8
	v_mul_hi_u32 v13, v7, v9
	v_mul_lo_u32 v9, v7, v9
	v_mul_hi_u32 v14, v7, v8
	v_mul_lo_u32 v8, v7, v8
	v_add_co_u32 v10, vcc_lo, v10, v11
	v_add_co_ci_u32_e32 v11, vcc_lo, 0, v12, vcc_lo
	v_add_co_u32 v9, vcc_lo, v10, v9
	v_add_co_ci_u32_e32 v9, vcc_lo, v11, v13, vcc_lo
	v_add_co_ci_u32_e32 v10, vcc_lo, 0, v14, vcc_lo
	v_add_co_u32 v8, vcc_lo, v9, v8
	v_add_co_ci_u32_e32 v9, vcc_lo, 0, v10, vcc_lo
	v_add_co_u32 v4, vcc_lo, v4, v8
	v_add_co_ci_u32_e32 v7, vcc_lo, v7, v9, vcc_lo
	v_mul_hi_u32 v8, s0, v4
	v_mul_lo_u32 v10, s26, v4
	v_mul_lo_u32 v9, s0, v7
	v_add_nc_u32_e32 v8, v8, v9
	v_mul_lo_u32 v9, s0, v4
	v_add_nc_u32_e32 v8, v8, v10
	v_mul_hi_u32 v10, v4, v9
	v_mul_lo_u32 v11, v4, v8
	v_mul_hi_u32 v12, v4, v8
	v_mul_hi_u32 v13, v7, v9
	v_mul_lo_u32 v9, v7, v9
	v_mul_hi_u32 v14, v7, v8
	v_mul_lo_u32 v8, v7, v8
	v_add_co_u32 v10, vcc_lo, v10, v11
	v_add_co_ci_u32_e32 v11, vcc_lo, 0, v12, vcc_lo
	v_add_co_u32 v9, vcc_lo, v10, v9
	v_add_co_ci_u32_e32 v9, vcc_lo, v11, v13, vcc_lo
	v_add_co_ci_u32_e32 v10, vcc_lo, 0, v14, vcc_lo
	v_add_co_u32 v8, vcc_lo, v9, v8
	v_add_co_ci_u32_e32 v9, vcc_lo, 0, v10, vcc_lo
	v_add_co_u32 v4, vcc_lo, v4, v8
	v_add_co_ci_u32_e32 v11, vcc_lo, v7, v9, vcc_lo
	v_mul_hi_u32 v13, v5, v4
	v_mad_u64_u32 v[9:10], null, v6, v4, 0
	v_mad_u64_u32 v[7:8], null, v5, v11, 0
	;; [unrolled: 1-line block ×3, first 2 shown]
	v_add_co_u32 v4, vcc_lo, v13, v7
	v_add_co_ci_u32_e32 v7, vcc_lo, 0, v8, vcc_lo
	v_add_co_u32 v4, vcc_lo, v4, v9
	v_add_co_ci_u32_e32 v4, vcc_lo, v7, v10, vcc_lo
	v_add_co_ci_u32_e32 v7, vcc_lo, 0, v12, vcc_lo
	v_add_co_u32 v4, vcc_lo, v4, v11
	v_add_co_ci_u32_e32 v9, vcc_lo, 0, v7, vcc_lo
	v_mul_lo_u32 v10, s25, v4
	v_mad_u64_u32 v[7:8], null, s24, v4, 0
	v_mul_lo_u32 v11, s24, v9
	v_sub_co_u32 v7, vcc_lo, v5, v7
	v_add3_u32 v8, v8, v11, v10
	v_sub_nc_u32_e32 v10, v6, v8
	v_subrev_co_ci_u32_e64 v10, s0, s25, v10, vcc_lo
	v_add_co_u32 v11, s0, v4, 2
	v_add_co_ci_u32_e64 v12, s0, 0, v9, s0
	v_sub_co_u32 v13, s0, v7, s24
	v_sub_co_ci_u32_e32 v8, vcc_lo, v6, v8, vcc_lo
	v_subrev_co_ci_u32_e64 v10, s0, 0, v10, s0
	v_cmp_le_u32_e32 vcc_lo, s24, v13
	v_cmp_eq_u32_e64 s0, s25, v8
	v_cndmask_b32_e64 v13, 0, -1, vcc_lo
	v_cmp_le_u32_e32 vcc_lo, s25, v10
	v_cndmask_b32_e64 v14, 0, -1, vcc_lo
	v_cmp_le_u32_e32 vcc_lo, s24, v7
	;; [unrolled: 2-line block ×3, first 2 shown]
	v_cndmask_b32_e64 v15, 0, -1, vcc_lo
	v_cmp_eq_u32_e32 vcc_lo, s25, v10
	v_cndmask_b32_e64 v7, v15, v7, s0
	v_cndmask_b32_e32 v10, v14, v13, vcc_lo
	v_add_co_u32 v13, vcc_lo, v4, 1
	v_add_co_ci_u32_e32 v14, vcc_lo, 0, v9, vcc_lo
	v_cmp_ne_u32_e32 vcc_lo, 0, v10
	v_cndmask_b32_e32 v8, v14, v12, vcc_lo
	v_cndmask_b32_e32 v10, v13, v11, vcc_lo
	v_cmp_ne_u32_e32 vcc_lo, 0, v7
	v_cndmask_b32_e32 v19, v9, v8, vcc_lo
	v_cndmask_b32_e32 v18, v4, v10, vcc_lo
.LBB0_4:                                ;   in Loop: Header=BB0_2 Depth=1
	s_andn2_saveexec_b32 s0, s1
	s_cbranch_execz .LBB0_6
; %bb.5:                                ;   in Loop: Header=BB0_2 Depth=1
	v_cvt_f32_u32_e32 v4, s24
	s_sub_i32 s1, 0, s24
	v_mov_b32_e32 v19, v3
	v_rcp_iflag_f32_e32 v4, v4
	v_mul_f32_e32 v4, 0x4f7ffffe, v4
	v_cvt_u32_f32_e32 v4, v4
	v_mul_lo_u32 v7, s1, v4
	v_mul_hi_u32 v7, v4, v7
	v_add_nc_u32_e32 v4, v4, v7
	v_mul_hi_u32 v4, v5, v4
	v_mul_lo_u32 v7, v4, s24
	v_add_nc_u32_e32 v8, 1, v4
	v_sub_nc_u32_e32 v7, v5, v7
	v_subrev_nc_u32_e32 v9, s24, v7
	v_cmp_le_u32_e32 vcc_lo, s24, v7
	v_cndmask_b32_e32 v7, v7, v9, vcc_lo
	v_cndmask_b32_e32 v4, v4, v8, vcc_lo
	v_cmp_le_u32_e32 vcc_lo, s24, v7
	v_add_nc_u32_e32 v8, 1, v4
	v_cndmask_b32_e32 v18, v4, v8, vcc_lo
.LBB0_6:                                ;   in Loop: Header=BB0_2 Depth=1
	s_or_b32 exec_lo, exec_lo, s0
	v_mul_lo_u32 v4, v19, s24
	v_mul_lo_u32 v9, v18, s25
	s_load_dwordx2 s[0:1], s[6:7], 0x0
	v_mad_u64_u32 v[7:8], null, v18, s24, 0
	s_load_dwordx2 s[24:25], s[2:3], 0x0
	s_add_u32 s22, s22, 1
	s_addc_u32 s23, s23, 0
	s_add_u32 s2, s2, 8
	s_addc_u32 s3, s3, 0
	s_add_u32 s6, s6, 8
	v_add3_u32 v4, v8, v9, v4
	v_sub_co_u32 v5, vcc_lo, v5, v7
	s_addc_u32 s7, s7, 0
	s_add_u32 s20, s20, 8
	v_sub_co_ci_u32_e32 v4, vcc_lo, v6, v4, vcc_lo
	s_addc_u32 s21, s21, 0
	s_waitcnt lgkmcnt(0)
	v_mul_lo_u32 v6, s0, v4
	v_mul_lo_u32 v7, s1, v5
	v_mad_u64_u32 v[1:2], null, s0, v5, v[1:2]
	v_mul_lo_u32 v4, s24, v4
	v_mul_lo_u32 v8, s25, v5
	v_mad_u64_u32 v[16:17], null, s24, v5, v[16:17]
	v_cmp_ge_u64_e64 s0, s[22:23], s[10:11]
	v_add3_u32 v2, v7, v2, v6
	v_add3_u32 v17, v8, v17, v4
	s_and_b32 vcc_lo, exec_lo, s0
	s_cbranch_vccnz .LBB0_9
; %bb.7:                                ;   in Loop: Header=BB0_2 Depth=1
	v_mov_b32_e32 v5, v18
	v_mov_b32_e32 v6, v19
	s_branch .LBB0_2
.LBB0_8:
	v_mov_b32_e32 v17, v2
	v_mov_b32_e32 v19, v6
	;; [unrolled: 1-line block ×4, first 2 shown]
.LBB0_9:
	s_load_dwordx2 s[0:1], s[4:5], 0x28
	v_mul_hi_u32 v41, 0x5050506, v0
	s_lshl_b64 s[4:5], s[10:11], 3
                                        ; implicit-def: $sgpr6
                                        ; implicit-def: $vgpr20
	s_add_u32 s2, s18, s4
	s_addc_u32 s3, s19, s5
	s_waitcnt lgkmcnt(0)
	v_cmp_gt_u64_e32 vcc_lo, s[0:1], v[18:19]
	v_cmp_le_u64_e64 s0, s[0:1], v[18:19]
	s_and_saveexec_b32 s1, s0
	s_xor_b32 s0, exec_lo, s1
; %bb.10:
	v_mul_u32_u24_e32 v1, 51, v41
	s_mov_b32 s6, 0
                                        ; implicit-def: $vgpr41
	v_sub_nc_u32_e32 v20, v0, v1
                                        ; implicit-def: $vgpr0
                                        ; implicit-def: $vgpr1_vgpr2
; %bb.11:
	s_or_saveexec_b32 s1, s0
	v_mov_b32_e32 v3, s6
                                        ; implicit-def: $vgpr32
                                        ; implicit-def: $vgpr24
                                        ; implicit-def: $vgpr33
                                        ; implicit-def: $vgpr25
                                        ; implicit-def: $vgpr28
                                        ; implicit-def: $vgpr21
                                        ; implicit-def: $vgpr30
                                        ; implicit-def: $vgpr22
                                        ; implicit-def: $vgpr27
                                        ; implicit-def: $vgpr9
                                        ; implicit-def: $vgpr14
                                        ; implicit-def: $vgpr7
                                        ; implicit-def: $vgpr12
                                        ; implicit-def: $vgpr5
                                        ; implicit-def: $vgpr10
                                        ; implicit-def: $vgpr4
                                        ; implicit-def: $vgpr40
                                        ; implicit-def: $vgpr37
                                        ; implicit-def: $vgpr39
                                        ; implicit-def: $vgpr35
                                        ; implicit-def: $vgpr38
                                        ; implicit-def: $vgpr31
                                        ; implicit-def: $vgpr36
                                        ; implicit-def: $vgpr29
                                        ; implicit-def: $vgpr34
                                        ; implicit-def: $vgpr15
                                        ; implicit-def: $vgpr26
                                        ; implicit-def: $vgpr11
                                        ; implicit-def: $vgpr23
                                        ; implicit-def: $vgpr8
                                        ; implicit-def: $vgpr13
                                        ; implicit-def: $vgpr6
	s_xor_b32 exec_lo, exec_lo, s1
	s_cbranch_execz .LBB0_13
; %bb.12:
	s_add_u32 s4, s16, s4
	s_addc_u32 s5, s17, s5
	v_lshlrev_b64 v[1:2], 2, v[1:2]
	s_load_dwordx2 s[4:5], s[4:5], 0x0
	s_waitcnt lgkmcnt(0)
	v_mul_lo_u32 v5, s5, v18
	v_mul_lo_u32 v6, s4, v19
	v_mad_u64_u32 v[3:4], null, s4, v18, 0
	v_add3_u32 v4, v4, v6, v5
	v_mul_u32_u24_e32 v5, 51, v41
	v_lshlrev_b64 v[3:4], 2, v[3:4]
	v_sub_nc_u32_e32 v20, v0, v5
	v_add_co_u32 v0, s0, s12, v3
	v_add_co_ci_u32_e64 v3, s0, s13, v4, s0
	v_lshlrev_b32_e32 v4, 2, v20
	v_add_co_u32 v0, s0, v0, v1
	v_add_co_ci_u32_e64 v1, s0, v3, v2, s0
	v_add_co_u32 v0, s0, v0, v4
	v_add_co_ci_u32_e64 v1, s0, 0, v1, s0
	;; [unrolled: 2-line block ×3, first 2 shown]
	s_clause 0x10
	global_load_dword v24, v[0:1], off offset:204
	global_load_dword v25, v[0:1], off offset:408
	;; [unrolled: 1-line block ×16, first 2 shown]
	global_load_dword v3, v[0:1], off
	s_waitcnt vmcnt(16)
	v_lshrrev_b32_e32 v32, 16, v24
	s_waitcnt vmcnt(15)
	v_lshrrev_b32_e32 v33, 16, v25
	;; [unrolled: 2-line block ×16, first 2 shown]
.LBB0_13:
	s_or_b32 exec_lo, exec_lo, s1
	v_add_f16_e32 v1, v24, v37
	v_sub_f16_e32 v2, v32, v40
	v_add_f16_e32 v44, v25, v35
	v_sub_f16_e32 v45, v33, v39
	v_add_f16_e32 v46, v21, v31
	v_pk_mul_f16 v47, 0x39e93b76, v1 op_sel_hi:[1,0]
	v_sub_f16_e32 v48, v28, v38
	v_pk_mul_f16 v51, 0x2de839e9, v44 op_sel_hi:[1,0]
	v_pk_mul_f16 v57, 0x2de83722, v1 op_sel_hi:[1,0]
	;; [unrolled: 1-line block ×3, first 2 shown]
	v_pk_fma_f16 v0, 0xb964b5c8, v2, v47 op_sel_hi:[1,0,1] neg_lo:[0,1,0] neg_hi:[0,1,0]
	v_pk_mul_f16 v58, 0xbbddb8d2, v44 op_sel_hi:[1,0]
	v_pk_fma_f16 v41, 0xbbf7b964, v45, v51 op_sel_hi:[1,0,1] neg_lo:[0,1,0] neg_hi:[0,1,0]
	v_add_f16_e32 v49, v22, v29
	v_pk_fma_f16 v42, 0xba62bb29, v48, v54 op_sel_hi:[1,0,1] neg_lo:[0,1,0] neg_hi:[0,1,0]
	s_waitcnt vmcnt(0)
	v_pk_add_f16 v0, v0, v3 op_sel_hi:[1,0]
	v_pk_mul_f16 v60, 0xb461bbdd, v46 op_sel_hi:[1,0]
	v_sub_f16_e32 v50, v30, v36
	v_add_f16_e32 v52, v9, v15
	v_pk_mul_f16 v63, 0x3b76b461, v49 op_sel_hi:[1,0]
	v_pk_add_f16 v0, v41, v0
	v_pk_fma_f16 v41, 0xbbf7bb29, v2, v57 op_sel_hi:[1,0,1] neg_lo:[0,1,0] neg_hi:[0,1,0]
	v_pk_fma_f16 v62, 0x3bb231e1, v48, v60 op_sel_hi:[1,0,1] neg_lo:[0,1,0] neg_hi:[0,1,0]
	v_sub_f16_e32 v53, v27, v34
	v_pk_mul_f16 v56, 0xbbdd2de8, v49 op_sel_hi:[1,0]
	v_pk_add_f16 v0, v42, v0
	v_pk_fma_f16 v42, 0xb1e1ba62, v45, v58 op_sel_hi:[1,0,1] neg_lo:[0,1,0] neg_hi:[0,1,0]
	v_pk_add_f16 v41, v41, v3 op_sel_hi:[1,0]
	v_add_f16_e32 v69, v24, v3
	v_add_f16_e32 v55, v7, v11
	v_pk_mul_f16 v59, 0xbacdb461, v52 op_sel_hi:[1,0]
	v_pk_fma_f16 v43, 0xb1e1bbf7, v50, v56 op_sel_hi:[1,0,1] neg_lo:[0,1,0] neg_hi:[0,1,0]
	v_pk_add_f16 v41, v42, v41
	v_pk_fma_f16 v42, 0x35c83bb2, v50, v63 op_sel_hi:[1,0,1] neg_lo:[0,1,0] neg_hi:[0,1,0]
	v_add_f16_sdwa v67, v32, v3 dst_sel:DWORD dst_unused:UNUSED_PAD src0_sel:DWORD src1_sel:WORD_1
	v_add_f16_e32 v69, v25, v69
	v_sub_f16_e32 v61, v14, v26
	v_pk_add_f16 v41, v62, v41
	v_pk_mul_f16 v62, 0x372239e9, v52 op_sel_hi:[1,0]
	v_pk_add_f16 v0, v43, v0
	v_pk_fma_f16 v43, 0x3836bbb2, v53, v59 op_sel_hi:[1,0,1] neg_lo:[0,1,0] neg_hi:[0,1,0]
	v_pk_mul_f16 v64, 0xb461b8d2, v55 op_sel_hi:[1,0]
	v_pk_add_f16 v41, v42, v41
	v_pk_fma_f16 v42, 0xbb293964, v53, v62 op_sel_hi:[1,0,1] neg_lo:[0,1,0] neg_hi:[0,1,0]
	v_add_f16_e32 v65, v5, v8
	v_add_f16_e32 v67, v33, v67
	v_pk_add_f16 v0, v43, v0
	v_pk_fma_f16 v43, 0x3bb2ba62, v61, v64 op_sel_hi:[1,0,1] neg_lo:[0,1,0] neg_hi:[0,1,0]
	v_pk_add_f16 v41, v42, v41
	v_add_f16_e32 v42, v21, v69
	v_sub_f16_e32 v66, v12, v23
	v_pk_mul_f16 v68, 0x3722bacd, v65 op_sel_hi:[1,0]
	v_add_f16_e32 v67, v28, v67
	v_pk_add_f16 v0, v43, v0
	v_add_f16_e32 v42, v22, v42
	v_pk_mul_f16 v70, 0xbacd3b76, v55 op_sel_hi:[1,0]
	v_pk_fma_f16 v43, 0x3b29b836, v66, v68 op_sel_hi:[1,0,1] neg_lo:[0,1,0] neg_hi:[0,1,0]
	v_add_f16_e32 v67, v30, v67
	v_pk_mul_f16 v73, 0xb8d2b461, v1 op_sel_hi:[1,0]
	v_add_f16_e32 v42, v9, v42
	v_pk_fma_f16 v69, 0xb836b5c8, v61, v70 op_sel_hi:[1,0,1] neg_lo:[0,1,0] neg_hi:[0,1,0]
	v_pk_add_f16 v0, v43, v0
	v_add_f16_e32 v43, v27, v67
	v_pk_fma_f16 v67, 0xba62bbb2, v2, v73 op_sel_hi:[1,0,1] neg_lo:[0,1,0] neg_hi:[0,1,0]
	v_add_f16_e32 v42, v7, v42
	v_pk_add_f16 v41, v69, v41
	v_pk_mul_f16 v69, 0xb461bacd, v44 op_sel_hi:[1,0]
	v_add_f16_e32 v43, v14, v43
	v_pk_add_f16 v67, v67, v3 op_sel_hi:[1,0]
	v_add_f16_e32 v42, v5, v42
	v_pk_mul_f16 v76, 0x3b7639e9, v46 op_sel_hi:[1,0]
	v_pk_fma_f16 v75, 0x3bb23836, v45, v69 op_sel_hi:[1,0,1] neg_lo:[0,1,0] neg_hi:[0,1,0]
	v_add_f16_e32 v43, v12, v43
	v_pk_mul_f16 v78, 0xbacd3722, v49 op_sel_hi:[1,0]
	v_add_f16_e32 v42, v4, v42
	v_pk_mul_f16 v71, 0xb8d22de8, v65 op_sel_hi:[1,0]
	v_pk_add_f16 v67, v75, v67
	v_add_f16_e32 v43, v10, v43
	v_pk_fma_f16 v75, 0xb5c83964, v48, v76 op_sel_hi:[1,0,1] neg_lo:[0,1,0] neg_hi:[0,1,0]
	v_add_f16_e32 v42, v6, v42
	v_pk_mul_f16 v80, 0x2de8bbdd, v52 op_sel_hi:[1,0]
	v_add_f16_e32 v72, v4, v6
	v_add_f16_e32 v43, v13, v43
	v_pk_add_f16 v67, v75, v67
	v_add_f16_e32 v42, v8, v42
	v_pk_fma_f16 v75, 0xb836bb29, v50, v78 op_sel_hi:[1,0,1] neg_lo:[0,1,0] neg_hi:[0,1,0]
	v_pk_fma_f16 v74, 0x3a62bbf7, v66, v71 op_sel_hi:[1,0,1] neg_lo:[0,1,0] neg_hi:[0,1,0]
	v_add_f16_e32 v43, v23, v43
	v_pk_mul_f16 v82, 0x39e92de8, v55 op_sel_hi:[1,0]
	v_add_f16_e32 v42, v11, v42
	v_pk_add_f16 v67, v75, v67
	v_pk_fma_f16 v75, 0x3bf7b1e1, v53, v80 op_sel_hi:[1,0,1] neg_lo:[0,1,0] neg_hi:[0,1,0]
	v_add_f16_e32 v43, v26, v43
	v_sub_f16_e32 v77, v10, v13
	v_add_f16_e32 v42, v15, v42
	v_pk_mul_f16 v79, 0x3b76bbdd, v72 op_sel_hi:[1,0]
	v_pk_mul_f16 v81, 0x39e9bacd, v72 op_sel_hi:[1,0]
	v_pk_add_f16 v74, v74, v41
	v_pk_add_f16 v41, v75, v67
	v_add_f16_e32 v43, v34, v43
	v_pk_fma_f16 v67, 0xb9643bf7, v61, v82 op_sel_hi:[1,0,1] neg_lo:[0,1,0] neg_hi:[0,1,0]
	v_pk_mul_f16 v75, 0xbbdd3b76, v65 op_sel_hi:[1,0]
	v_add_f16_e32 v42, v29, v42
	v_pk_fma_f16 v83, 0x35c8b1e1, v77, v79 op_sel_hi:[1,0,1] neg_lo:[0,1,0] neg_hi:[0,1,0]
	v_add_f16_e32 v43, v36, v43
	v_pk_add_f16 v41, v67, v41
	v_pk_fma_f16 v67, 0xb1e1b5c8, v66, v75 op_sel_hi:[1,0,1] neg_lo:[0,1,0] neg_hi:[0,1,0]
	v_pk_mul_f16 v84, 0x3722b8d2, v72 op_sel_hi:[1,0]
	v_pk_fma_f16 v85, 0x3964b836, v77, v81 op_sel_hi:[1,0,1] neg_lo:[0,1,0] neg_hi:[0,1,0]
	v_add_f16_e32 v42, v31, v42
	v_pk_mul_f16 v1, 0xbbddbacd, v1 op_sel_hi:[1,0]
	v_add_f16_e32 v43, v38, v43
	v_pk_add_f16 v67, v67, v41
	v_pk_fma_f16 v86, 0x3b29ba62, v77, v84 op_sel_hi:[1,0,1] neg_lo:[0,1,0] neg_hi:[0,1,0]
	v_pk_add_f16 v41, v83, v0
	v_add_f16_e32 v83, v35, v42
	v_pk_add_f16 v42, v85, v74
	v_sub_f16_e32 v25, v25, v35
	v_sub_f16_e32 v35, v21, v31
	v_add_f16_e32 v85, v30, v36
	v_sub_f16_e32 v36, v22, v29
	v_pk_fma_f16 v21, 0xb1e1b836, v2, v1 op_sel_hi:[1,0,1] neg_lo:[0,1,0] neg_hi:[0,1,0]
	v_pk_mul_f16 v22, 0x3b763722, v44 op_sel_hi:[1,0]
	v_add_f16_e32 v87, v39, v43
	v_pk_add_f16 v43, v86, v67
	v_add_f16_e32 v67, v32, v40
	v_add_f16_e32 v32, v37, v83
	v_sub_f16_e32 v37, v24, v37
	v_pk_fma_f16 v1, 0xb1e1b836, v2, v1 op_sel_hi:[1,0,1]
	v_sub_f16_e32 v9, v9, v15
	v_pk_add_f16 v15, v21, v3 op_sel_hi:[1,0]
	v_pk_fma_f16 v21, 0x35c83b29, v45, v22 op_sel_hi:[1,0,1] neg_lo:[0,1,0] neg_hi:[0,1,0]
	v_pk_mul_f16 v24, 0xbacd2de8, v46 op_sel_hi:[1,0]
	v_pk_add_f16 v1, v1, v3 op_sel_hi:[1,0]
	v_pk_fma_f16 v22, 0x35c83b29, v45, v22 op_sel_hi:[1,0,1]
	v_add_f16_e32 v14, v14, v26
	v_pk_add_f16 v15, v21, v15
	v_pk_fma_f16 v21, 0xb836bbf7, v48, v24 op_sel_hi:[1,0,1] neg_lo:[0,1,0] neg_hi:[0,1,0]
	v_pk_mul_f16 v26, 0x39e9b8d2, v49 op_sel_hi:[1,0]
	v_pk_add_f16 v1, v22, v1
	v_pk_fma_f16 v22, 0xb836bbf7, v48, v24 op_sel_hi:[1,0,1]
	v_sub_f16_e32 v11, v7, v11
	v_pk_add_f16 v7, v21, v15
	v_pk_fma_f16 v15, 0x39643a62, v50, v26 op_sel_hi:[1,0,1] neg_lo:[0,1,0] neg_hi:[0,1,0]
	v_pk_mul_f16 v21, 0xb8d23b76, v52 op_sel_hi:[1,0]
	v_pk_add_f16 v1, v22, v1
	v_pk_fma_f16 v22, 0x39643a62, v50, v26 op_sel_hi:[1,0,1]
	v_add_f16_e32 v12, v12, v23
	v_pk_add_f16 v7, v15, v7
	v_pk_fma_f16 v15, 0xba62b5c8, v53, v21 op_sel_hi:[1,0,1] neg_lo:[0,1,0] neg_hi:[0,1,0]
	v_pk_mul_f16 v23, 0x3722bbdd, v55 op_sel_hi:[1,0]
	v_pk_add_f16 v1, v22, v1
	v_pk_fma_f16 v21, 0xba62b5c8, v53, v21 op_sel_hi:[1,0,1]
	v_sub_f16_e32 v8, v5, v8
	v_pk_add_f16 v5, v15, v7
	v_pk_fma_f16 v7, 0x3b29b1e1, v61, v23 op_sel_hi:[1,0,1] neg_lo:[0,1,0] neg_hi:[0,1,0]
	v_pk_mul_f16 v15, 0xb46139e9, v65 op_sel_hi:[1,0]
	v_pk_add_f16 v1, v21, v1
	v_pk_fma_f16 v22, 0x3b29b1e1, v61, v23 op_sel_hi:[1,0,1]
	v_add_f16_e32 v10, v10, v13
	v_pk_add_f16 v5, v7, v5
	v_pk_fma_f16 v7, 0xbbb23964, v66, v15 op_sel_hi:[1,0,1] neg_lo:[0,1,0] neg_hi:[0,1,0]
	v_pk_mul_f16 v13, 0x2de8b461, v72 op_sel_hi:[1,0]
	v_pk_add_f16 v1, v22, v1
	v_pk_fma_f16 v15, 0xbbb23964, v66, v15 op_sel_hi:[1,0,1]
	v_sub_f16_e32 v26, v4, v6
	v_pk_add_f16 v4, v7, v5
	v_pk_fma_f16 v5, 0x3bf7bbb2, v77, v13 op_sel_hi:[1,0,1] neg_lo:[0,1,0] neg_hi:[0,1,0]
	v_pk_fma_f16 v6, 0x3bf7bbb2, v77, v13 op_sel_hi:[1,0,1]
	v_pk_add_f16 v1, v15, v1
	v_pk_fma_f16 v7, 0xba62bbb2, v2, v73 op_sel_hi:[1,0,1]
	v_pk_fma_f16 v13, 0xbbf7b964, v45, v51 op_sel_hi:[1,0,1]
	v_pk_add_f16 v44, v5, v4
	v_pk_fma_f16 v4, 0xbbf7bb29, v2, v57 op_sel_hi:[1,0,1]
	v_pk_fma_f16 v2, 0xb964b5c8, v2, v47 op_sel_hi:[1,0,1]
	v_pk_add_f16 v1, v6, v1
	v_pk_add_f16 v5, v7, v3 op_sel_hi:[1,0]
	v_pk_fma_f16 v6, 0x3bb23836, v45, v69 op_sel_hi:[1,0,1]
	v_pk_add_f16 v4, v4, v3 op_sel_hi:[1,0]
	v_pk_fma_f16 v7, 0xb1e1ba62, v45, v58 op_sel_hi:[1,0,1]
	;; [unrolled: 2-line block ×3, first 2 shown]
	v_pk_add_f16 v5, v6, v5
	v_pk_fma_f16 v6, 0xb5c83964, v48, v76 op_sel_hi:[1,0,1]
	v_pk_add_f16 v4, v7, v4
	v_pk_fma_f16 v7, 0x3bb231e1, v48, v60 op_sel_hi:[1,0,1]
	;; [unrolled: 2-line block ×16, first 2 shown]
	v_pk_add_f16 v7, v7, v4
	v_pk_mul_f16 v45, 0xb964b5c8, v37 op_sel_hi:[1,0]
	v_pk_add_f16 v2, v13, v2
	v_pk_fma_f16 v13, 0x35c8b1e1, v77, v79 op_sel_hi:[1,0,1]
	v_add_f16_e32 v74, v33, v39
	v_alignbit_b32 v4, v1, v1, 16
	v_pk_add_f16 v1, v6, v5
	v_pk_add_f16 v6, v15, v7
	;; [unrolled: 1-line block ×3, first 2 shown]
	v_pk_fma_f16 v13, 0x39e93b76, v67, v45 op_sel_hi:[1,0,1]
	v_pk_mul_f16 v15, 0xbbf7b964, v25 op_sel_hi:[1,0]
	v_add_f16_e32 v83, v28, v38
	v_mad_u32_u24 v21, v20, 34, 0
	v_alignbit_b32 v5, v1, v1, 16
	v_alignbit_b32 v7, v2, v2, 16
	v_pk_add_f16 v1, v13, v3 op_sel:[0,1]
	v_pk_fma_f16 v2, 0x2de839e9, v74, v15 op_sel_hi:[1,0,1]
	v_pk_mul_f16 v13, 0xba62bb29, v35 op_sel_hi:[1,0]
	v_alignbit_b32 v6, v6, v6, 16
	ds_write_b16 v21, v32
	s_load_dwordx2 s[2:3], s[2:3], 0x0
	ds_write_b128 v21, v[41:44] offset:2
	ds_write_b128 v21, v[4:7] offset:18
	v_pk_add_f16 v1, v2, v1
	v_pk_fma_f16 v2, 0xb8d23722, v83, v13 op_sel_hi:[1,0,1]
	v_pk_mul_f16 v43, 0xb1e1bbf7, v36 op_sel_hi:[1,0]
	v_pk_mul_f16 v44, 0xbbf7bb29, v37 op_sel_hi:[1,0]
	v_add_f16_e32 v86, v27, v34
	v_pk_mul_f16 v46, 0x3836bbb2, v9 op_sel_hi:[1,0]
	v_pk_add_f16 v1, v2, v1
	v_pk_fma_f16 v2, 0xbbdd2de8, v85, v43 op_sel_hi:[1,0,1]
	v_pk_fma_f16 v4, 0x2de83722, v67, v44 op_sel_hi:[1,0,1]
	v_pk_mul_f16 v47, 0xb1e1ba62, v25 op_sel_hi:[1,0]
	v_pk_mul_f16 v48, 0x3bb2ba62, v11 op_sel_hi:[1,0]
	;; [unrolled: 1-line block ×3, first 2 shown]
	v_pk_add_f16 v1, v2, v1
	v_pk_fma_f16 v2, 0xbacdb461, v86, v46 op_sel_hi:[1,0,1]
	v_pk_add_f16 v4, v4, v3 op_sel:[0,1]
	v_pk_fma_f16 v5, 0xbbddb8d2, v74, v47 op_sel_hi:[1,0,1]
	v_pk_mul_f16 v50, 0x3b29b836, v8 op_sel_hi:[1,0]
	v_pk_mul_f16 v51, 0x35c83bb2, v36 op_sel_hi:[1,0]
	v_pk_add_f16 v1, v2, v1
	v_pk_fma_f16 v2, 0xb461b8d2, v14, v48 op_sel_hi:[1,0,1]
	v_pk_add_f16 v4, v5, v4
	v_pk_fma_f16 v5, 0xb461bbdd, v83, v49 op_sel_hi:[1,0,1]
	v_pk_mul_f16 v52, 0xbb293964, v9 op_sel_hi:[1,0]
	v_pk_mul_f16 v53, 0xb836b5c8, v11 op_sel_hi:[1,0]
	v_pk_add_f16 v1, v2, v1
	v_pk_fma_f16 v2, 0x3722bacd, v12, v50 op_sel_hi:[1,0,1]
	v_pk_add_f16 v4, v5, v4
	v_pk_fma_f16 v5, 0x3b76b461, v85, v51 op_sel_hi:[1,0,1]
	v_pk_mul_f16 v55, 0x3bb23836, v25 op_sel_hi:[1,0]
	v_pk_mul_f16 v56, 0x3a62bbf7, v8 op_sel_hi:[1,0]
	v_pk_add_f16 v1, v2, v1
	v_pk_mul_f16 v2, 0xba62bbb2, v37 op_sel_hi:[1,0]
	v_pk_add_f16 v4, v5, v4
	v_pk_fma_f16 v5, 0x372239e9, v86, v52 op_sel_hi:[1,0,1]
	v_pk_fma_f16 v7, 0xb461bacd, v74, v55 op_sel_hi:[1,0,1]
	v_pk_mul_f16 v57, 0xb5c83964, v35 op_sel_hi:[1,0]
	v_pk_fma_f16 v6, 0xb8d2b461, v67, v2 op_sel_hi:[1,0,1]
	v_pk_mul_f16 v58, 0xb836bb29, v36 op_sel_hi:[1,0]
	v_pk_add_f16 v4, v5, v4
	v_pk_fma_f16 v5, 0xbacd3b76, v14, v53 op_sel_hi:[1,0,1]
	v_pk_mul_f16 v60, 0x3bf7b1e1, v9 op_sel_hi:[1,0]
	v_pk_add_f16 v6, v6, v3 op_sel:[0,1]
	v_pk_mul_f16 v25, 0x35c83b29, v25 op_sel_hi:[1,0]
	v_pk_mul_f16 v61, 0xb9643bf7, v11 op_sel_hi:[1,0]
	v_pk_add_f16 v4, v5, v4
	v_pk_fma_f16 v5, 0xb8d22de8, v12, v56 op_sel_hi:[1,0,1]
	v_pk_add_f16 v6, v7, v6
	v_pk_fma_f16 v7, 0x3b7639e9, v83, v57 op_sel_hi:[1,0,1]
	v_pk_fma_f16 v39, 0x3b763722, v74, v25 op_sel_hi:[1,0,1]
	v_pk_mul_f16 v35, 0xb836bbf7, v35 op_sel_hi:[1,0]
	v_pk_add_f16 v5, v5, v4
	v_pk_mul_f16 v4, 0xb1e1b836, v37 op_sel_hi:[1,0]
	v_pk_add_f16 v6, v7, v6
	v_pk_fma_f16 v7, 0xbacd3722, v85, v58 op_sel_hi:[1,0,1]
	v_pk_fma_f16 v25, 0x3b763722, v74, v25 op_sel_hi:[1,0,1] neg_lo:[0,0,1] neg_hi:[0,0,1]
	v_pk_mul_f16 v36, 0x39643a62, v36 op_sel_hi:[1,0]
	v_pk_fma_f16 v38, 0xbbddbacd, v67, v4 op_sel_hi:[1,0,1]
	v_pk_fma_f16 v4, 0xbbddbacd, v67, v4 op_sel_hi:[1,0,1] neg_lo:[0,0,1] neg_hi:[0,0,1]
	v_pk_add_f16 v6, v7, v6
	v_pk_fma_f16 v7, 0x2de8bbdd, v86, v60 op_sel_hi:[1,0,1]
	v_pk_mul_f16 v9, 0xba62b5c8, v9 op_sel_hi:[1,0]
	v_pk_add_f16 v38, v38, v3 op_sel:[0,1]
	v_pk_add_f16 v4, v4, v3 op_sel:[0,1]
	v_pk_mul_f16 v62, 0xb1e1b5c8, v8 op_sel_hi:[1,0]
	v_pk_add_f16 v6, v7, v6
	v_pk_fma_f16 v7, 0x39e92de8, v14, v61 op_sel_hi:[1,0,1]
	v_pk_add_f16 v38, v39, v38
	v_pk_fma_f16 v39, 0xbacd2de8, v83, v35 op_sel_hi:[1,0,1]
	v_pk_add_f16 v4, v25, v4
	v_pk_fma_f16 v25, 0xbacd2de8, v83, v35 op_sel_hi:[1,0,1] neg_lo:[0,0,1] neg_hi:[0,0,1]
	v_pk_add_f16 v6, v7, v6
	v_pk_fma_f16 v35, 0xb8d23b76, v86, v9 op_sel_hi:[1,0,1]
	v_pk_add_f16 v7, v39, v38
	v_pk_fma_f16 v38, 0x39e9b8d2, v85, v36 op_sel_hi:[1,0,1]
	v_pk_add_f16 v4, v25, v4
	v_pk_fma_f16 v25, 0x39e9b8d2, v85, v36 op_sel_hi:[1,0,1] neg_lo:[0,0,1] neg_hi:[0,0,1]
	v_pk_mul_f16 v11, 0x3b29b1e1, v11 op_sel_hi:[1,0]
	v_pk_fma_f16 v9, 0xb8d23b76, v86, v9 op_sel_hi:[1,0,1] neg_lo:[0,0,1] neg_hi:[0,0,1]
	v_pk_add_f16 v7, v38, v7
	v_pk_mul_f16 v54, 0x35c8b1e1, v26 op_sel_hi:[1,0]
	v_pk_add_f16 v4, v25, v4
	v_pk_fma_f16 v36, 0xbbdd3b76, v12, v62 op_sel_hi:[1,0,1]
	v_pk_mul_f16 v8, 0xbbb23964, v8 op_sel_hi:[1,0]
	v_pk_add_f16 v7, v35, v7
	v_pk_fma_f16 v35, 0x3722bbdd, v14, v11 op_sel_hi:[1,0,1]
	v_pk_mul_f16 v25, 0x3b29ba62, v26 op_sel_hi:[1,0]
	v_pk_add_f16 v4, v9, v4
	v_pk_fma_f16 v9, 0x3722bbdd, v14, v11 op_sel_hi:[1,0,1] neg_lo:[0,0,1] neg_hi:[0,0,1]
	v_pk_fma_f16 v34, 0x3b76bbdd, v10, v54 op_sel_hi:[1,0,1]
	v_pk_mul_f16 v59, 0x3964b836, v26 op_sel_hi:[1,0]
	v_pk_add_f16 v7, v35, v7
	v_pk_fma_f16 v35, 0xb46139e9, v12, v8 op_sel_hi:[1,0,1]
	v_pk_mul_f16 v26, 0x3bf7bbb2, v26 op_sel_hi:[1,0]
	v_pk_add_f16 v6, v36, v6
	v_pk_fma_f16 v11, 0x3722b8d2, v10, v25 op_sel_hi:[1,0,1]
	v_pk_add_f16 v9, v9, v4
	v_pk_fma_f16 v8, 0xb46139e9, v12, v8 op_sel_hi:[1,0,1] neg_lo:[0,0,1] neg_hi:[0,0,1]
	v_pk_add_f16 v4, v34, v1
	v_pk_fma_f16 v2, 0xb8d2b461, v67, v2 op_sel_hi:[1,0,1] neg_lo:[0,0,1] neg_hi:[0,0,1]
	;; [unrolled: 2-line block ×4, first 2 shown]
	v_pk_fma_f16 v9, 0x2de83722, v67, v44 op_sel_hi:[1,0,1] neg_lo:[0,0,1] neg_hi:[0,0,1]
	v_pk_add_f16 v7, v35, v7
	v_pk_fma_f16 v35, 0x2de8b461, v10, v26 op_sel_hi:[1,0,1]
	v_pk_add_f16 v2, v2, v3 op_sel:[0,1]
	v_pk_add_f16 v1, v8, v1
	v_pk_fma_f16 v8, 0xb461bacd, v74, v55 op_sel_hi:[1,0,1] neg_lo:[0,0,1] neg_hi:[0,0,1]
	v_pk_add_f16 v9, v9, v3 op_sel:[0,1]
	v_pk_fma_f16 v26, 0xbbddb8d2, v74, v47 op_sel_hi:[1,0,1] neg_lo:[0,0,1] neg_hi:[0,0,1]
	v_pk_add_f16 v3, v11, v3 op_sel:[0,1]
	v_pk_fma_f16 v11, 0x2de839e9, v74, v15 op_sel_hi:[1,0,1] neg_lo:[0,0,1] neg_hi:[0,0,1]
	v_pk_add_f16 v2, v8, v2
	v_pk_fma_f16 v8, 0x3b7639e9, v83, v57 op_sel_hi:[1,0,1] neg_lo:[0,0,1] neg_hi:[0,0,1]
	v_pk_add_f16 v9, v26, v9
	;; [unrolled: 2-line block ×12, first 2 shown]
	v_pk_fma_f16 v11, 0xb461b8d2, v14, v48 op_sel_hi:[1,0,1] neg_lo:[0,0,1] neg_hi:[0,0,1]
	v_and_b32_e32 v14, 0xff, v20
	v_pk_add_f16 v2, v8, v2
	v_pk_fma_f16 v8, 0xbbdd3b76, v12, v62 op_sel_hi:[1,0,1] neg_lo:[0,0,1] neg_hi:[0,0,1]
	v_pk_fma_f16 v37, 0x39e9bacd, v10, v59 op_sel_hi:[1,0,1]
	v_pk_add_f16 v3, v11, v3
	v_mul_lo_u16 v11, 0xf1, v14
	v_lshlrev_b32_e32 v22, 5, v20
	v_pk_add_f16 v2, v8, v2
	v_pk_add_f16 v8, v13, v9
	v_pk_fma_f16 v9, 0xb8d22de8, v12, v56 op_sel_hi:[1,0,1] neg_lo:[0,0,1] neg_hi:[0,0,1]
	v_pk_fma_f16 v12, 0x3722bacd, v12, v50 op_sel_hi:[1,0,1] neg_lo:[0,0,1] neg_hi:[0,0,1]
	v_pk_fma_f16 v13, 0x3722b8d2, v10, v25 op_sel_hi:[1,0,1] neg_lo:[0,0,1] neg_hi:[0,0,1]
	v_lshrrev_b16 v25, 12, v11
	v_add_f16_e32 v0, v40, v87
	v_pk_add_f16 v8, v9, v8
	v_pk_fma_f16 v9, 0x39e9bacd, v10, v59 op_sel_hi:[1,0,1] neg_lo:[0,0,1] neg_hi:[0,0,1]
	v_pk_add_f16 v3, v12, v3
	v_pk_fma_f16 v10, 0x3b76bbdd, v10, v54 op_sel_hi:[1,0,1] neg_lo:[0,0,1] neg_hi:[0,0,1]
	v_pk_add_f16 v2, v13, v2
	v_mul_lo_u16 v12, v25, 17
	v_pk_add_f16 v11, v9, v8
	v_alignbit_b32 v8, v1, v1, 16
	v_pk_add_f16 v1, v10, v3
	v_alignbit_b32 v9, v2, v2, 16
	v_sub_nc_u16 v26, v20, v12
	v_mov_b32_e32 v2, 6
	v_sub_nc_u32_e32 v23, v21, v22
	v_alignbit_b32 v10, v11, v11, 16
	v_alignbit_b32 v11, v1, v1, 16
	v_pk_add_f16 v5, v37, v5
	v_lshlrev_b32_sdwa v12, v2, v26 dst_sel:DWORD dst_unused:UNUSED_PAD src0_sel:DWORD src1_sel:BYTE_0
	v_pk_add_f16 v7, v35, v7
	s_waitcnt lgkmcnt(0)
	s_barrier
	buffer_gl0_inv
	ds_read_u16 v24, v23
	ds_read_u16 v33, v23 offset:102
	ds_read_u16 v32, v23 offset:204
	;; [unrolled: 1-line block ×16, first 2 shown]
	s_waitcnt lgkmcnt(0)
	s_barrier
	buffer_gl0_inv
	ds_write_b16 v21, v0
	ds_write_b128 v21, v[4:7] offset:2
	ds_write_b128 v21, v[8:11] offset:18
	s_waitcnt lgkmcnt(0)
	s_barrier
	buffer_gl0_inv
	s_clause 0x3
	global_load_dwordx4 v[0:3], v12, s[8:9]
	global_load_dwordx4 v[4:7], v12, s[8:9] offset:16
	global_load_dwordx4 v[8:11], v12, s[8:9] offset:32
	;; [unrolled: 1-line block ×3, first 2 shown]
	ds_read_u16 v50, v23 offset:102
	ds_read_u16 v49, v23 offset:204
	;; [unrolled: 1-line block ×7, first 2 shown]
	ds_read_u16 v43, v23
	ds_read_u16 v57, v23 offset:816
	ds_read_u16 v58, v23 offset:918
	;; [unrolled: 1-line block ×9, first 2 shown]
	s_waitcnt vmcnt(0) lgkmcnt(0)
	s_barrier
	buffer_gl0_inv
	v_cmp_gt_u32_e64 s0, 34, v20
	v_mul_f16_sdwa v51, v50, v0 dst_sel:DWORD dst_unused:UNUSED_PAD src0_sel:DWORD src1_sel:WORD_1
	v_mul_f16_sdwa v55, v33, v0 dst_sel:DWORD dst_unused:UNUSED_PAD src0_sel:DWORD src1_sel:WORD_1
	;; [unrolled: 1-line block ×4, first 2 shown]
	v_fma_f16 v56, v33, v0, -v51
	v_fmac_f16_e32 v55, v50, v0
	v_mul_f16_sdwa v0, v48, v2 dst_sel:DWORD dst_unused:UNUSED_PAD src0_sel:DWORD src1_sel:WORD_1
	v_fma_f16 v54, v32, v1, -v52
	v_mul_f16_sdwa v51, v31, v2 dst_sel:DWORD dst_unused:UNUSED_PAD src0_sel:DWORD src1_sel:WORD_1
	v_mul_f16_sdwa v32, v47, v3 dst_sel:DWORD dst_unused:UNUSED_PAD src0_sel:DWORD src1_sel:WORD_1
	v_fmac_f16_e32 v53, v49, v1
	v_fma_f16 v52, v31, v2, -v0
	v_mul_f16_sdwa v49, v30, v3 dst_sel:DWORD dst_unused:UNUSED_PAD src0_sel:DWORD src1_sel:WORD_1
	v_mul_f16_sdwa v0, v46, v4 dst_sel:DWORD dst_unused:UNUSED_PAD src0_sel:DWORD src1_sel:WORD_1
	v_fmac_f16_e32 v51, v48, v2
	v_fma_f16 v50, v30, v3, -v32
	v_mul_f16_sdwa v48, v29, v4 dst_sel:DWORD dst_unused:UNUSED_PAD src0_sel:DWORD src1_sel:WORD_1
	v_fmac_f16_e32 v49, v47, v3
	v_mul_f16_sdwa v1, v45, v5 dst_sel:DWORD dst_unused:UNUSED_PAD src0_sel:DWORD src1_sel:WORD_1
	v_fma_f16 v47, v29, v4, -v0
	v_mul_f16_sdwa v0, v44, v6 dst_sel:DWORD dst_unused:UNUSED_PAD src0_sel:DWORD src1_sel:WORD_1
	v_mul_f16_sdwa v3, v58, v8 dst_sel:DWORD dst_unused:UNUSED_PAD src0_sel:DWORD src1_sel:WORD_1
	;; [unrolled: 1-line block ×3, first 2 shown]
	v_fmac_f16_e32 v48, v46, v4
	v_fma_f16 v33, v28, v5, -v1
	v_mul_f16_sdwa v28, v27, v6 dst_sel:DWORD dst_unused:UNUSED_PAD src0_sel:DWORD src1_sel:WORD_1
	v_mul_f16_sdwa v1, v57, v7 dst_sel:DWORD dst_unused:UNUSED_PAD src0_sel:DWORD src1_sel:WORD_1
	v_fma_f16 v29, v27, v6, -v0
	v_fma_f16 v27, v41, v8, -v3
	v_mul_f16_sdwa v3, v59, v9 dst_sel:DWORD dst_unused:UNUSED_PAD src0_sel:DWORD src1_sel:WORD_1
	v_mul_f16_sdwa v4, v60, v10 dst_sel:DWORD dst_unused:UNUSED_PAD src0_sel:DWORD src1_sel:WORD_1
	v_fmac_f16_e32 v28, v44, v6
	v_fma_f16 v2, v42, v7, -v1
	v_mul_f16_sdwa v1, v41, v8 dst_sel:DWORD dst_unused:UNUSED_PAD src0_sel:DWORD src1_sel:WORD_1
	v_mul_f16_sdwa v41, v39, v10 dst_sel:DWORD dst_unused:UNUSED_PAD src0_sel:DWORD src1_sel:WORD_1
	v_fma_f16 v31, v40, v9, -v3
	v_mul_f16_sdwa v3, v61, v11 dst_sel:DWORD dst_unused:UNUSED_PAD src0_sel:DWORD src1_sel:WORD_1
	v_fma_f16 v39, v39, v10, -v4
	v_mul_f16_sdwa v44, v37, v15 dst_sel:DWORD dst_unused:UNUSED_PAD src0_sel:DWORD src1_sel:WORD_1
	v_mul_f16_sdwa v4, v65, v15 dst_sel:DWORD dst_unused:UNUSED_PAD src0_sel:DWORD src1_sel:WORD_1
	v_fmac_f16_e32 v32, v45, v5
	v_mul_f16_sdwa v30, v40, v9 dst_sel:DWORD dst_unused:UNUSED_PAD src0_sel:DWORD src1_sel:WORD_1
	v_fmac_f16_e32 v1, v58, v8
	v_mul_f16_sdwa v40, v38, v11 dst_sel:DWORD dst_unused:UNUSED_PAD src0_sel:DWORD src1_sel:WORD_1
	v_fma_f16 v38, v38, v11, -v3
	v_mul_f16_sdwa v3, v62, v12 dst_sel:DWORD dst_unused:UNUSED_PAD src0_sel:DWORD src1_sel:WORD_1
	v_fmac_f16_e32 v44, v65, v15
	v_fma_f16 v58, v37, v15, -v4
	v_mul_f16_sdwa v4, v63, v13 dst_sel:DWORD dst_unused:UNUSED_PAD src0_sel:DWORD src1_sel:WORD_1
	v_mul_f16_sdwa v45, v34, v14 dst_sel:DWORD dst_unused:UNUSED_PAD src0_sel:DWORD src1_sel:WORD_1
	;; [unrolled: 1-line block ×4, first 2 shown]
	v_fma_f16 v36, v36, v12, -v3
	v_sub_f16_e32 v3, v55, v44
	v_fma_f16 v46, v35, v13, -v4
	v_mul_f16_sdwa v4, v64, v14 dst_sel:DWORD dst_unused:UNUSED_PAD src0_sel:DWORD src1_sel:WORD_1
	v_fmac_f16_e32 v45, v64, v14
	v_fmac_f16_e32 v0, v57, v7
	v_add_f16_e32 v5, v56, v58
	v_mul_f16_e32 v6, 0xbb29, v3
	v_fma_f16 v57, v34, v14, -v4
	v_sub_f16_e32 v15, v53, v45
	v_fmac_f16_e32 v30, v59, v9
	v_mul_f16_sdwa v37, v35, v13 dst_sel:DWORD dst_unused:UNUSED_PAD src0_sel:DWORD src1_sel:WORD_1
	v_fma_f16 v7, v5, 0x3722, -v6
	v_mul_f16_e32 v8, 0xbbf7, v3
	v_add_f16_e32 v35, v54, v57
	v_mul_f16_e32 v59, 0xba62, v15
	v_fmac_f16_e32 v40, v61, v11
	v_fmac_f16_e32 v42, v62, v12
	;; [unrolled: 1-line block ×3, first 2 shown]
	v_add_f16_e32 v4, v24, v7
	v_fma_f16 v7, v5, 0x2de8, -v8
	v_mul_f16_e32 v9, 0xbbb2, v3
	v_mul_f16_e32 v61, 0xb1e1, v15
	v_fma_f16 v62, v35, 0xb8d2, -v59
	v_fmac_f16_e32 v41, v60, v10
	v_fmac_f16_e32 v37, v63, v13
	;; [unrolled: 1-line block ×3, first 2 shown]
	v_add_f16_e32 v6, v24, v6
	v_mul_f16_e32 v10, 0xba62, v3
	v_add_f16_e32 v7, v24, v7
	v_fma_f16 v11, v5, 0xb461, -v9
	v_fmac_f16_e32 v59, 0xb8d2, v35
	v_fma_f16 v63, v35, 0xbbdd, -v61
	v_add_f16_e32 v4, v62, v4
	v_mul_f16_e32 v62, 0x3836, v15
	v_add_f16_e32 v8, v24, v8
	v_fmac_f16_e32 v9, 0xb461, v5
	v_fma_f16 v12, v5, 0xb8d2, -v10
	v_mul_f16_e32 v13, 0xb836, v3
	v_fmac_f16_e32 v10, 0xb8d2, v5
	v_add_f16_e32 v11, v24, v11
	v_add_f16_e32 v6, v59, v6
	v_fmac_f16_e32 v61, 0xbbdd, v35
	v_add_f16_e32 v7, v63, v7
	v_mul_f16_e32 v59, 0x3bb2, v15
	v_fma_f16 v63, v35, 0xbacd, -v62
	v_add_f16_e32 v9, v24, v9
	v_add_f16_e32 v12, v24, v12
	v_fma_f16 v14, v5, 0xbacd, -v13
	v_add_f16_e32 v10, v24, v10
	v_mul_f16_e32 v34, 0xb1e1, v3
	v_fmac_f16_e32 v13, 0xbacd, v5
	v_fmac_f16_e32 v62, 0xbacd, v35
	v_add_f16_e32 v8, v61, v8
	v_mul_f16_e32 v61, 0x3b29, v15
	v_fma_f16 v64, v35, 0xb461, -v59
	v_add_f16_e32 v11, v63, v11
	v_fmac_f16_e32 v59, 0xb461, v35
	v_sub_f16_e32 v63, v51, v37
	v_add_f16_e32 v14, v24, v14
	v_fma_f16 v60, v5, 0xbbdd, -v34
	v_add_f16_e32 v13, v24, v13
	v_add_f16_e32 v9, v62, v9
	v_fma_f16 v62, v35, 0x3722, -v61
	v_add_f16_e32 v12, v64, v12
	v_fmac_f16_e32 v61, 0x3722, v35
	v_mul_f16_e32 v64, 0x35c8, v15
	v_add_f16_e32 v10, v59, v10
	v_add_f16_e32 v59, v52, v46
	v_mul_f16_e32 v65, 0x31e1, v63
	v_fmac_f16_e32 v34, 0xbbdd, v5
	v_add_f16_e32 v60, v24, v60
	v_add_f16_e32 v14, v62, v14
	v_fma_f16 v62, v35, 0x3b76, -v64
	v_add_f16_e32 v13, v61, v13
	v_fma_f16 v61, v59, 0xbbdd, -v65
	v_mul_f16_e32 v66, 0x3bb2, v63
	v_add_f16_e32 v34, v24, v34
	v_fmac_f16_e32 v64, 0x3b76, v35
	v_add_f16_e32 v60, v62, v60
	v_add_f16_e32 v4, v61, v4
	v_fma_f16 v61, v59, 0xb461, -v66
	v_mul_f16_e32 v62, 0x3964, v63
	v_add_f16_e32 v34, v64, v34
	v_fmac_f16_e32 v65, 0xbbdd, v59
	v_mul_f16_e32 v64, 0xb5c8, v63
	v_add_f16_e32 v7, v61, v7
	v_fma_f16 v61, v59, 0x39e9, -v62
	v_fmac_f16_e32 v62, 0x39e9, v59
	v_fmac_f16_e32 v66, 0xb461, v59
	v_add_f16_e32 v6, v65, v6
	v_fma_f16 v65, v59, 0x3b76, -v64
	v_fmac_f16_e32 v64, 0x3b76, v59
	v_add_f16_e32 v11, v61, v11
	v_mul_f16_e32 v61, 0xbbf7, v63
	v_add_f16_e32 v9, v62, v9
	v_sub_f16_e32 v62, v49, v42
	v_add_f16_e32 v8, v66, v8
	v_add_f16_e32 v12, v65, v12
	;; [unrolled: 1-line block ×3, first 2 shown]
	v_fma_f16 v64, v59, 0x2de8, -v61
	v_mul_f16_e32 v65, 0xb836, v63
	v_fmac_f16_e32 v61, 0x2de8, v59
	v_add_f16_e32 v66, v50, v36
	v_mul_f16_e32 v67, 0x3bb2, v62
	v_add_f16_e32 v14, v64, v14
	v_fma_f16 v64, v59, 0xbacd, -v65
	v_add_f16_e32 v13, v61, v13
	v_mul_f16_e32 v68, 0x35c8, v62
	v_fma_f16 v61, v66, 0xb461, -v67
	v_fmac_f16_e32 v65, 0xbacd, v59
	v_add_f16_e32 v60, v64, v60
	v_mul_f16_e32 v64, 0xbb29, v62
	v_fmac_f16_e32 v67, 0xb461, v66
	v_add_f16_e32 v4, v61, v4
	v_fma_f16 v61, v66, 0x3b76, -v68
	v_add_f16_e32 v34, v65, v34
	v_mul_f16_e32 v65, 0xb836, v62
	v_fmac_f16_e32 v68, 0x3b76, v66
	v_add_f16_e32 v6, v67, v6
	v_add_f16_e32 v7, v61, v7
	v_fma_f16 v61, v66, 0x3722, -v64
	v_fmac_f16_e32 v64, 0x3722, v66
	v_fma_f16 v67, v66, 0xbacd, -v65
	v_fmac_f16_e32 v65, 0xbacd, v66
	v_add_f16_e32 v8, v68, v8
	v_add_f16_e32 v11, v61, v11
	v_mul_f16_e32 v61, 0x3a62, v62
	v_add_f16_e32 v9, v64, v9
	v_sub_f16_e32 v64, v48, v40
	v_add_f16_e32 v12, v67, v12
	v_add_f16_e32 v10, v65, v10
	v_fma_f16 v65, v66, 0xb8d2, -v61
	v_mul_f16_e32 v67, 0x3964, v62
	v_fmac_f16_e32 v61, 0xb8d2, v66
	v_add_f16_e32 v68, v47, v38
	v_mul_f16_e32 v69, 0x3964, v64
	v_add_f16_e32 v14, v65, v14
	v_fma_f16 v65, v66, 0x39e9, -v67
	v_add_f16_e32 v13, v61, v13
	v_mul_f16_e32 v70, 0xbb29, v64
	v_fma_f16 v61, v68, 0x39e9, -v69
	v_fmac_f16_e32 v67, 0x39e9, v66
	v_add_f16_e32 v60, v65, v60
	v_mul_f16_e32 v65, 0xb1e1, v64
	v_fmac_f16_e32 v69, 0x39e9, v68
	v_add_f16_e32 v4, v61, v4
	v_fma_f16 v61, v68, 0x3722, -v70
	v_add_f16_e32 v34, v67, v34
	v_mul_f16_e32 v67, 0x3bf7, v64
	v_add_f16_e32 v6, v69, v6
	v_fmac_f16_e32 v70, 0x3722, v68
	v_add_f16_e32 v7, v61, v7
	v_fma_f16 v61, v68, 0xbbdd, -v65
	v_fmac_f16_e32 v65, 0xbbdd, v68
	v_fma_f16 v69, v68, 0x2de8, -v67
	v_fmac_f16_e32 v67, 0x2de8, v68
	v_add_f16_e32 v8, v70, v8
	v_add_f16_e32 v11, v61, v11
	;; [unrolled: 1-line block ×3, first 2 shown]
	v_mul_f16_e32 v61, 0xb5c8, v64
	v_sub_f16_e32 v65, v32, v41
	v_add_f16_e32 v12, v69, v12
	v_add_f16_e32 v10, v67, v10
	v_mul_f16_e32 v67, 0xba62, v64
	v_fma_f16 v69, v68, 0x3b76, -v61
	v_fmac_f16_e32 v61, 0x3b76, v68
	v_add_f16_e32 v70, v33, v39
	v_mul_f16_e32 v71, 0xb5c8, v65
	v_fma_f16 v72, v68, 0xb8d2, -v67
	v_add_f16_e32 v14, v69, v14
	v_fmac_f16_e32 v67, 0xb8d2, v68
	v_add_f16_e32 v13, v61, v13
	v_fma_f16 v61, v70, 0x3b76, -v71
	v_mul_f16_e32 v69, 0xb836, v65
	v_fmac_f16_e32 v71, 0x3b76, v70
	v_add_f16_e32 v34, v67, v34
	v_add_f16_e32 v60, v72, v60
	;; [unrolled: 1-line block ×3, first 2 shown]
	v_mul_f16_e32 v61, 0x3bf7, v65
	v_fma_f16 v67, v70, 0xbacd, -v69
	v_fmac_f16_e32 v69, 0xbacd, v70
	v_add_f16_e32 v6, v71, v6
	v_mul_f16_e32 v71, 0xb964, v65
	v_fma_f16 v72, v70, 0x2de8, -v61
	v_add_f16_e32 v7, v67, v7
	v_add_f16_e32 v8, v69, v8
	v_fmac_f16_e32 v61, 0x2de8, v70
	v_fma_f16 v67, v70, 0x39e9, -v71
	v_mul_f16_e32 v69, 0xb1e1, v65
	v_fmac_f16_e32 v71, 0x39e9, v70
	v_add_f16_e32 v11, v72, v11
	v_add_f16_e32 v9, v61, v9
	;; [unrolled: 1-line block ×3, first 2 shown]
	v_mul_f16_e32 v61, 0x3b29, v65
	v_fma_f16 v67, v70, 0xbbdd, -v69
	v_add_f16_e32 v10, v71, v10
	v_sub_f16_e32 v71, v28, v30
	v_fmac_f16_e32 v69, 0xbbdd, v70
	v_fma_f16 v72, v70, 0x3722, -v61
	v_add_f16_e32 v14, v67, v14
	v_add_f16_e32 v67, v29, v31
	v_mul_f16_e32 v73, 0xbbf7, v71
	v_add_f16_e32 v13, v69, v13
	v_fmac_f16_e32 v61, 0x3722, v70
	v_mul_f16_e32 v69, 0x3a62, v71
	v_add_f16_e32 v60, v72, v60
	v_fma_f16 v72, v67, 0x2de8, -v73
	v_fmac_f16_e32 v73, 0x2de8, v67
	v_add_f16_e32 v34, v61, v34
	v_fma_f16 v61, v67, 0xb8d2, -v69
	v_mul_f16_e32 v74, 0xb5c8, v71
	v_add_f16_e32 v72, v72, v4
	v_mul_f16_e32 v4, 0xb1e1, v71
	v_fmac_f16_e32 v69, 0xb8d2, v67
	v_add_f16_e32 v7, v61, v7
	v_add_f16_e32 v6, v73, v6
	v_fma_f16 v73, v67, 0x3b76, -v74
	v_fma_f16 v61, v67, 0xbbdd, -v4
	v_fmac_f16_e32 v4, 0xbbdd, v67
	v_add_f16_e32 v8, v69, v8
	v_fmac_f16_e32 v74, 0x3b76, v67
	v_mul_f16_e32 v69, 0x3964, v71
	v_pk_mul_f16 v3, 0xb964b5c8, v3 op_sel_hi:[1,0]
	v_add_f16_e32 v10, v4, v10
	v_add_f16_e32 v4, v24, v56
	v_pk_mul_f16 v15, 0xbbf7b964, v15 op_sel_hi:[1,0]
	v_add_f16_e32 v11, v73, v11
	v_add_f16_e32 v9, v74, v9
	;; [unrolled: 1-line block ×4, first 2 shown]
	v_fma_f16 v61, v67, 0x39e9, -v69
	v_pk_fma_f16 v73, 0x39e93b76, v5, v3 op_sel_hi:[1,0,1] neg_lo:[0,0,1] neg_hi:[0,0,1]
	v_pk_fma_f16 v74, 0x2de839e9, v35, v15 op_sel_hi:[1,0,1] neg_lo:[0,0,1] neg_hi:[0,0,1]
	v_pk_fma_f16 v3, 0x39e93b76, v5, v3 op_sel_hi:[1,0,1]
	v_add_f16_e32 v4, v4, v52
	v_pk_fma_f16 v15, 0x2de839e9, v35, v15 op_sel_hi:[1,0,1]
	v_mul_f16_e32 v35, 0xbbb2, v71
	v_fmac_f16_e32 v69, 0x39e9, v67
	v_add_f16_e32 v14, v61, v14
	v_add_f16_e32 v4, v4, v50
	;; [unrolled: 1-line block ×3, first 2 shown]
	v_add_f16_sdwa v5, v24, v73 dst_sel:DWORD dst_unused:UNUSED_PAD src0_sel:DWORD src1_sel:WORD_1
	v_pk_mul_f16 v63, 0xba62bb29, v63 op_sel_hi:[1,0]
	v_pk_add_f16 v3, v24, v3 op_sel_hi:[0,1]
	v_add_f16_e32 v4, v4, v47
	v_fma_f16 v24, v67, 0xb461, -v35
	v_add_f16_e32 v13, v69, v13
	v_add_f16_e32 v61, v74, v61
	v_add_f16_sdwa v5, v74, v5 dst_sel:DWORD dst_unused:UNUSED_PAD src0_sel:WORD_1 src1_sel:DWORD
	v_pk_fma_f16 v69, 0xb8d23722, v59, v63 op_sel_hi:[1,0,1] neg_lo:[0,0,1] neg_hi:[0,0,1]
	v_pk_add_f16 v3, v15, v3
	v_pk_fma_f16 v15, 0xb8d23722, v59, v63 op_sel_hi:[1,0,1]
	v_add_f16_e32 v4, v4, v33
	v_add_f16_e32 v24, v24, v60
	v_pk_mul_f16 v60, 0xb1e1bbf7, v62 op_sel_hi:[1,0]
	v_add_f16_e32 v59, v69, v61
	v_add_f16_sdwa v5, v69, v5 dst_sel:DWORD dst_unused:UNUSED_PAD src0_sel:WORD_1 src1_sel:DWORD
	v_add_f16_e32 v4, v4, v29
	v_pk_add_f16 v3, v15, v3
	v_fmac_f16_e32 v35, 0xb461, v67
	v_pk_fma_f16 v15, 0xbbdd2de8, v66, v60 op_sel_hi:[1,0,1] neg_lo:[0,0,1] neg_hi:[0,0,1]
	v_pk_fma_f16 v60, 0xbbdd2de8, v66, v60 op_sel_hi:[1,0,1]
	v_pk_mul_f16 v61, 0x3836bbb2, v64 op_sel_hi:[1,0]
	v_add_f16_e32 v4, v4, v2
	v_add_f16_e32 v35, v35, v34
	;; [unrolled: 1-line block ×3, first 2 shown]
	v_add_f16_sdwa v5, v15, v5 dst_sel:DWORD dst_unused:UNUSED_PAD src0_sel:WORD_1 src1_sel:DWORD
	v_pk_fma_f16 v15, 0xbacdb461, v68, v61 op_sel_hi:[1,0,1] neg_lo:[0,0,1] neg_hi:[0,0,1]
	v_pk_add_f16 v3, v60, v3
	v_pk_mul_f16 v59, 0x3bb2ba62, v65 op_sel_hi:[1,0]
	v_pk_fma_f16 v60, 0xbacdb461, v68, v61 op_sel_hi:[1,0,1]
	v_add_f16_e32 v4, v4, v27
	v_add_f16_e32 v34, v15, v34
	v_add_f16_sdwa v5, v15, v5 dst_sel:DWORD dst_unused:UNUSED_PAD src0_sel:WORD_1 src1_sel:DWORD
	v_pk_fma_f16 v15, 0xb461b8d2, v70, v59 op_sel_hi:[1,0,1] neg_lo:[0,0,1] neg_hi:[0,0,1]
	v_pk_add_f16 v3, v60, v3
	v_pk_mul_f16 v60, 0x3b29b836, v71 op_sel_hi:[1,0]
	v_sub_f16_e32 v61, v0, v1
	v_pk_fma_f16 v59, 0xb461b8d2, v70, v59 op_sel_hi:[1,0,1]
	v_add_f16_e32 v4, v4, v31
	v_add_f16_e32 v34, v15, v34
	v_add_f16_sdwa v5, v15, v5 dst_sel:DWORD dst_unused:UNUSED_PAD src0_sel:WORD_1 src1_sel:DWORD
	v_pk_fma_f16 v15, 0x3722bacd, v67, v60 op_sel_hi:[1,0,1] neg_lo:[0,0,1] neg_hi:[0,0,1]
	v_add_f16_e32 v62, v2, v27
	v_pk_add_f16 v3, v59, v3
	v_pk_mul_f16 v59, 0x35c8b1e1, v61 op_sel_hi:[1,0]
	v_add_f16_e32 v4, v4, v39
	v_add_f16_e32 v34, v15, v34
	v_pk_fma_f16 v60, 0x3722bacd, v67, v60 op_sel_hi:[1,0,1]
	v_add_f16_sdwa v5, v15, v5 dst_sel:DWORD dst_unused:UNUSED_PAD src0_sel:WORD_1 src1_sel:DWORD
	v_pk_fma_f16 v15, 0x3b76bbdd, v62, v59 op_sel_hi:[1,0,1] neg_lo:[0,0,1] neg_hi:[0,0,1]
	v_mul_f16_e32 v63, 0xb836, v61
	v_add_f16_e32 v64, v4, v38
	v_pk_add_f16 v3, v60, v3
	v_pk_fma_f16 v4, 0x3b76bbdd, v62, v59 op_sel_hi:[1,0,1]
	v_add_f16_e32 v59, v15, v34
	v_fma_f16 v34, v62, 0xbacd, -v63
	v_add_f16_sdwa v5, v15, v5 dst_sel:DWORD dst_unused:UNUSED_PAD src0_sel:WORD_1 src1_sel:DWORD
	v_mul_f16_e32 v15, 0x3964, v61
	v_pk_add_f16 v4, v4, v3
	v_fmac_f16_e32 v63, 0xbacd, v62
	v_add_f16_e32 v3, v34, v72
	v_mul_f16_e32 v34, 0xba62, v61
	v_fma_f16 v60, v62, 0x39e9, -v15
	v_fmac_f16_e32 v15, 0x39e9, v62
	v_mul_f16_e32 v65, 0x3b29, v61
	v_add_f16_e32 v64, v64, v36
	v_add_f16_e32 v6, v63, v6
	v_fma_f16 v63, v62, 0xb8d2, -v34
	v_add_f16_e32 v8, v15, v8
	v_fmac_f16_e32 v34, 0xb8d2, v62
	v_fma_f16 v15, v62, 0x3722, -v65
	v_add_f16_e32 v7, v60, v7
	v_add_f16_e32 v60, v64, v46
	;; [unrolled: 1-line block ×5, first 2 shown]
	v_mov_b32_e32 v15, 0x242
	v_mul_f16_e32 v34, 0xbbb2, v61
	v_mov_b32_e32 v63, 1
	v_mul_f16_e32 v61, 0x3bf7, v61
	v_add_f16_e32 v60, v60, v57
	v_mul_u32_u24_sdwa v15, v25, v15 dst_sel:DWORD dst_unused:UNUSED_PAD src0_sel:WORD_0 src1_sel:DWORD
	v_fma_f16 v25, v62, 0xb461, -v34
	v_fmac_f16_e32 v34, 0xb461, v62
	v_lshlrev_b32_sdwa v26, v63, v26 dst_sel:DWORD dst_unused:UNUSED_PAD src0_sel:DWORD src1_sel:BYTE_0
	v_fmac_f16_e32 v65, 0x3722, v62
	v_fma_f16 v63, v62, 0x2de8, -v61
	v_fmac_f16_e32 v61, 0x2de8, v62
	v_add_f16_e32 v60, v60, v58
	v_add_f16_e32 v13, v34, v13
	v_add3_u32 v34, 0, v15, v26
	v_add_f16_e32 v10, v65, v10
	v_add_f16_e32 v14, v25, v14
	;; [unrolled: 1-line block ×4, first 2 shown]
	ds_write_b16 v34, v60
	ds_write_b16 v34, v59 offset:34
	ds_write_b16 v34, v5 offset:68
	;; [unrolled: 1-line block ×14, first 2 shown]
	ds_write_b16_d16_hi v34, v4 offset:510
	ds_write_b16 v34, v4 offset:544
	s_waitcnt lgkmcnt(0)
	s_barrier
	buffer_gl0_inv
	ds_read_u16 v11, v23 offset:782
	ds_read_u16 v10, v23
	ds_read_u16 v3, v23 offset:102
	ds_read_u16 v6, v23 offset:204
	;; [unrolled: 1-line block ×13, first 2 shown]
	v_sub_nc_u32_e32 v5, 0, v22
	v_add_nc_u32_e32 v35, v21, v5
                                        ; implicit-def: $vgpr5
	s_and_saveexec_b32 s1, s0
	s_cbranch_execz .LBB0_15
; %bb.14:
	ds_read_u16 v4, v35 offset:1088
	s_waitcnt lgkmcnt(0)
	ds_read_u16_d16_hi v4, v35 offset:510
	ds_read_u16 v5, v35 offset:1666
.LBB0_15:
	s_or_b32 exec_lo, exec_lo, s1
	v_add_f16_e32 v21, v43, v55
	v_add_f16_e32 v22, v55, v44
	v_sub_f16_e32 v55, v56, v58
	v_sub_f16_e32 v54, v54, v57
	;; [unrolled: 1-line block ×3, first 2 shown]
	v_add_f16_e32 v21, v21, v53
	v_add_f16_e32 v56, v53, v45
	v_mul_f16_e32 v52, 0xbb29, v55
	v_mul_f16_e32 v58, 0xba62, v55
	;; [unrolled: 1-line block ×3, first 2 shown]
	v_add_f16_e32 v21, v21, v51
	v_mul_f16_e32 v57, 0xbbf7, v55
	v_mul_f16_e32 v60, 0xb1e1, v55
	;; [unrolled: 1-line block ×4, first 2 shown]
	v_add_f16_e32 v21, v21, v49
	v_mul_f16_e32 v65, 0x3b29, v54
	v_fmamk_f16 v67, v22, 0x3722, v52
	v_fmamk_f16 v70, v22, 0xb8d2, v58
	v_fma_f16 v58, v22, 0xb8d2, -v58
	v_add_f16_e32 v21, v21, v48
	v_fmamk_f16 v71, v22, 0xbacd, v59
	v_fma_f16 v59, v22, 0xbacd, -v59
	v_add_f16_e32 v53, v51, v37
	v_mul_f16_e32 v51, 0xbbb2, v55
	v_add_f16_e32 v21, v21, v32
	v_mul_f16_e32 v62, 0xb1e1, v54
	v_mul_f16_e32 v66, 0x35c8, v54
	v_fma_f16 v52, v22, 0x3722, -v52
	v_fmamk_f16 v68, v22, 0x2de8, v57
	v_add_f16_e32 v21, v21, v28
	v_fmamk_f16 v72, v22, 0xbbdd, v60
	v_fma_f16 v60, v22, 0xbbdd, -v60
	v_fmamk_f16 v73, v56, 0xb8d2, v61
	v_fmamk_f16 v76, v56, 0xb461, v64
	v_add_f16_e32 v21, v21, v0
	v_fma_f16 v64, v56, 0xb461, -v64
	v_fmamk_f16 v77, v56, 0x3722, v65
	v_fma_f16 v65, v56, 0x3722, -v65
	v_add_f16_e32 v67, v43, v67
	v_add_f16_e32 v21, v21, v1
	;; [unrolled: 1-line block ×4, first 2 shown]
	v_mul_f16_e32 v63, 0x3836, v54
	v_fma_f16 v57, v22, 0x2de8, -v57
	v_add_f16_e32 v21, v21, v30
	v_fmamk_f16 v69, v22, 0xb461, v51
	v_fma_f16 v61, v56, 0xb8d2, -v61
	v_fmamk_f16 v74, v56, 0xbbdd, v62
	v_add_f16_e32 v52, v43, v52
	v_add_f16_e32 v21, v21, v41
	;; [unrolled: 1-line block ×5, first 2 shown]
	v_fmamk_f16 v64, v56, 0x3b76, v66
	v_add_f16_e32 v21, v21, v40
	v_fma_f16 v66, v56, 0x3b76, -v66
	v_add_f16_e32 v59, v65, v59
	v_fma_f16 v62, v56, 0xbbdd, -v62
	v_fmamk_f16 v75, v56, 0xbacd, v63
	v_add_f16_e32 v21, v21, v42
	v_add_f16_e32 v57, v43, v57
	;; [unrolled: 1-line block ×7, first 2 shown]
	v_mul_f16_e32 v67, 0x3bb2, v46
	v_add_f16_e32 v60, v66, v60
	v_mul_f16_e32 v66, 0x3964, v46
	v_add_f16_e32 v21, v21, v45
	v_fma_f16 v51, v22, 0xb461, -v51
	v_add_f16_e32 v57, v62, v57
	v_add_f16_e32 v45, v75, v69
	v_fma_f16 v63, v56, 0xbacd, -v63
	v_add_f16_e32 v44, v21, v44
	v_mul_f16_e32 v21, 0x31e1, v46
	v_add_f16_e32 v51, v43, v51
	v_add_f16_e32 v71, v43, v71
	;; [unrolled: 1-line block ×3, first 2 shown]
	v_sub_f16_e32 v36, v50, v36
	v_fmamk_f16 v65, v53, 0xbbdd, v21
	v_fma_f16 v21, v53, 0xbbdd, -v21
	v_add_f16_e32 v51, v63, v51
	v_add_f16_e32 v63, v77, v71
	v_add_f16_e32 v64, v64, v72
	v_add_f16_e32 v37, v65, v37
	v_fmamk_f16 v65, v53, 0xb461, v67
	v_fma_f16 v67, v53, 0xb461, -v67
	v_add_f16_e32 v21, v21, v52
	v_mul_f16_e32 v52, 0xb5c8, v46
	v_add_f16_e32 v42, v49, v42
	v_add_f16_e32 v61, v65, v61
	v_fmamk_f16 v65, v53, 0x39e9, v66
	v_add_f16_e32 v57, v67, v57
	v_fmamk_f16 v67, v53, 0x3b76, v52
	v_fma_f16 v52, v53, 0x3b76, -v52
	v_fma_f16 v66, v53, 0x39e9, -v66
	v_add_f16_e32 v45, v65, v45
	v_mul_f16_e32 v65, 0xbbf7, v46
	v_mul_f16_e32 v49, 0x3bb2, v36
	v_add_f16_e32 v52, v52, v58
	v_mul_f16_e32 v58, 0xb836, v46
	v_add_f16_e32 v51, v66, v51
	v_fmamk_f16 v50, v53, 0x2de8, v65
	v_fma_f16 v65, v53, 0x2de8, -v65
	v_mul_f16_e32 v66, 0x35c8, v36
	v_sub_f16_e32 v38, v47, v38
	v_add_f16_e32 v40, v48, v40
	v_add_f16_e32 v50, v50, v63
	v_fmamk_f16 v63, v53, 0xbacd, v58
	v_fma_f16 v58, v53, 0xbacd, -v58
	v_add_f16_e32 v59, v65, v59
	v_fmamk_f16 v65, v42, 0xb461, v49
	v_fma_f16 v49, v42, 0xb461, -v49
	v_add_f16_e32 v63, v63, v64
	v_add_f16_e32 v58, v58, v60
	v_fmamk_f16 v60, v42, 0x3b76, v66
	v_mul_f16_e32 v64, 0xbb29, v36
	v_add_f16_e32 v37, v65, v37
	v_fma_f16 v65, v42, 0x3b76, -v66
	v_add_f16_e32 v21, v49, v21
	v_mul_f16_e32 v49, 0xb836, v36
	v_add_f16_e32 v60, v60, v61
	v_fmamk_f16 v61, v42, 0x3722, v64
	v_add_f16_e32 v57, v65, v57
	v_fma_f16 v64, v42, 0x3722, -v64
	v_fmamk_f16 v65, v42, 0xbacd, v49
	v_fma_f16 v49, v42, 0xbacd, -v49
	v_add_f16_e32 v45, v61, v45
	v_mul_f16_e32 v61, 0x3a62, v36
	v_mul_f16_e32 v48, 0x3964, v38
	v_add_f16_e32 v70, v43, v70
	v_add_f16_e32 v49, v49, v52
	v_mul_f16_e32 v52, 0x3964, v36
	v_fmamk_f16 v47, v42, 0xb8d2, v61
	v_fma_f16 v61, v42, 0xb8d2, -v61
	v_add_f16_e32 v51, v64, v51
	v_mul_f16_e32 v64, 0xbb29, v38
	v_add_f16_e32 v62, v76, v70
	v_add_f16_e32 v47, v47, v50
	v_fmamk_f16 v50, v42, 0x39e9, v52
	v_add_f16_e32 v59, v61, v59
	v_fma_f16 v52, v42, 0x39e9, -v52
	v_fmamk_f16 v61, v40, 0x39e9, v48
	v_fma_f16 v48, v40, 0x39e9, -v48
	v_add_f16_e32 v62, v67, v62
	v_add_f16_e32 v50, v50, v63
	;; [unrolled: 1-line block ×4, first 2 shown]
	v_fmamk_f16 v58, v40, 0x3722, v64
	v_mul_f16_e32 v61, 0xb1e1, v38
	v_add_f16_e32 v21, v48, v21
	v_fma_f16 v48, v40, 0x3722, -v64
	v_mul_f16_e32 v63, 0x3bf7, v38
	v_add_f16_e32 v58, v58, v60
	v_fmamk_f16 v60, v40, 0xbbdd, v61
	v_add_f16_e32 v62, v65, v62
	v_fma_f16 v61, v40, 0xbbdd, -v61
	v_add_f16_e32 v48, v48, v57
	v_fmamk_f16 v57, v40, 0x2de8, v63
	v_add_f16_e32 v45, v60, v45
	v_mul_f16_e32 v60, 0xb5c8, v38
	v_sub_f16_e32 v33, v33, v39
	v_mul_f16_e32 v39, 0xba62, v38
	v_add_f16_e32 v51, v61, v51
	v_add_f16_e32 v57, v57, v62
	v_fmamk_f16 v61, v40, 0x3b76, v60
	v_fma_f16 v60, v40, 0x3b76, -v60
	v_add_f16_e32 v32, v32, v41
	v_mul_f16_e32 v41, 0xb5c8, v33
	v_fmamk_f16 v62, v40, 0xb8d2, v39
	v_fma_f16 v39, v40, 0xb8d2, -v39
	v_add_f16_e32 v47, v61, v47
	v_add_f16_e32 v59, v60, v59
	v_fmamk_f16 v60, v32, 0x3b76, v41
	v_mul_f16_e32 v61, 0xb836, v33
	v_fma_f16 v41, v32, 0x3b76, -v41
	v_add_f16_e32 v39, v39, v52
	v_mul_f16_e32 v52, 0x3bf7, v33
	v_add_f16_e32 v50, v62, v50
	v_add_f16_e32 v37, v60, v37
	v_fmamk_f16 v60, v32, 0xbacd, v61
	v_add_f16_e32 v21, v41, v21
	v_fma_f16 v41, v32, 0xbacd, -v61
	v_mul_f16_e32 v61, 0xb964, v33
	v_fmamk_f16 v62, v32, 0x2de8, v52
	v_fma_f16 v52, v32, 0x2de8, -v52
	v_fma_f16 v63, v40, 0x2de8, -v63
	v_add_f16_e32 v41, v41, v48
	v_fmamk_f16 v48, v32, 0x39e9, v61
	v_sub_f16_e32 v29, v29, v31
	v_add_f16_e32 v51, v52, v51
	v_mul_f16_e32 v52, 0xb1e1, v33
	v_add_f16_e32 v49, v63, v49
	v_add_f16_e32 v48, v48, v57
	v_mul_f16_e32 v57, 0x3b29, v33
	v_add_f16_e32 v58, v60, v58
	v_fmamk_f16 v31, v32, 0xbbdd, v52
	v_fma_f16 v52, v32, 0xbbdd, -v52
	v_fma_f16 v60, v32, 0x39e9, -v61
	v_add_f16_e32 v28, v28, v30
	v_mul_f16_e32 v30, 0xbbf7, v29
	v_add_f16_e32 v31, v31, v47
	v_add_f16_e32 v47, v52, v59
	v_fma_f16 v52, v32, 0x3722, -v57
	v_add_f16_e32 v49, v60, v49
	v_fmamk_f16 v60, v32, 0x3722, v57
	v_fmamk_f16 v57, v28, 0x2de8, v30
	v_mul_f16_e32 v59, 0x3a62, v29
	v_fma_f16 v30, v28, 0x2de8, -v30
	v_add_f16_e32 v39, v52, v39
	v_mul_f16_e32 v52, 0xb5c8, v29
	v_add_f16_e32 v50, v60, v50
	v_add_f16_e32 v37, v57, v37
	v_fmamk_f16 v57, v28, 0xb8d2, v59
	v_add_f16_e32 v30, v30, v21
	v_fma_f16 v21, v28, 0xb8d2, -v59
	v_fmamk_f16 v59, v28, 0x3b76, v52
	v_mul_f16_e32 v60, 0xb1e1, v29
	v_fma_f16 v52, v28, 0x3b76, -v52
	v_add_f16_e32 v45, v62, v45
	v_add_f16_e32 v57, v57, v58
	;; [unrolled: 1-line block ×3, first 2 shown]
	v_fmamk_f16 v21, v28, 0xbbdd, v60
	v_mul_f16_e32 v58, 0x3964, v29
	v_add_f16_e32 v51, v52, v51
	v_pk_mul_f16 v52, 0xb964b5c8, v55 op_sel_hi:[1,0]
	v_add_f16_e32 v45, v59, v45
	v_add_f16_e32 v48, v21, v48
	v_fmamk_f16 v21, v28, 0x39e9, v58
	v_fma_f16 v58, v28, 0x39e9, -v58
	v_pk_fma_f16 v59, 0x39e93b76, v22, v52 op_sel_hi:[1,0,1]
	v_pk_mul_f16 v54, 0xbbf7b964, v54 op_sel_hi:[1,0]
	v_pk_fma_f16 v22, 0x39e93b76, v22, v52 op_sel_hi:[1,0,1] neg_lo:[0,0,1] neg_hi:[0,0,1]
	v_add_f16_e32 v31, v21, v31
	v_add_f16_e32 v47, v58, v47
	;; [unrolled: 1-line block ×3, first 2 shown]
	v_pk_fma_f16 v52, 0x2de839e9, v56, v54 op_sel_hi:[1,0,1]
	v_pk_mul_f16 v46, 0xba62bb29, v46 op_sel_hi:[1,0]
	v_add_f16_sdwa v58, v43, v59 dst_sel:DWORD dst_unused:UNUSED_PAD src0_sel:DWORD src1_sel:WORD_1
	v_pk_add_f16 v22, v43, v22 op_sel_hi:[0,1]
	v_pk_fma_f16 v43, 0x2de839e9, v56, v54 op_sel_hi:[1,0,1] neg_lo:[0,0,1] neg_hi:[0,0,1]
	v_add_f16_e32 v21, v52, v21
	v_pk_fma_f16 v54, 0xb8d23722, v53, v46 op_sel_hi:[1,0,1]
	v_pk_mul_f16 v36, 0xb1e1bbf7, v36 op_sel_hi:[1,0]
	v_add_f16_sdwa v52, v52, v58 dst_sel:DWORD dst_unused:UNUSED_PAD src0_sel:WORD_1 src1_sel:DWORD
	v_pk_add_f16 v22, v43, v22
	v_pk_fma_f16 v43, 0xb8d23722, v53, v46 op_sel_hi:[1,0,1] neg_lo:[0,0,1] neg_hi:[0,0,1]
	v_add_f16_e32 v21, v54, v21
	v_pk_fma_f16 v46, 0xbbdd2de8, v42, v36 op_sel_hi:[1,0,1]
	v_pk_mul_f16 v38, 0x3836bbb2, v38 op_sel_hi:[1,0]
	v_add_f16_sdwa v52, v54, v52 dst_sel:DWORD dst_unused:UNUSED_PAD src0_sel:WORD_1 src1_sel:DWORD
	v_pk_add_f16 v22, v43, v22
	v_pk_fma_f16 v36, 0xbbdd2de8, v42, v36 op_sel_hi:[1,0,1] neg_lo:[0,0,1] neg_hi:[0,0,1]
	v_fma_f16 v55, v28, 0xbbdd, -v60
	v_add_f16_e32 v21, v46, v21
	v_pk_fma_f16 v42, 0xbacdb461, v40, v38 op_sel_hi:[1,0,1]
	v_pk_mul_f16 v33, 0x3bb2ba62, v33 op_sel_hi:[1,0]
	v_add_f16_sdwa v46, v46, v52 dst_sel:DWORD dst_unused:UNUSED_PAD src0_sel:WORD_1 src1_sel:DWORD
	v_pk_add_f16 v22, v36, v22
	v_pk_fma_f16 v36, 0xbacdb461, v40, v38 op_sel_hi:[1,0,1] neg_lo:[0,0,1] neg_hi:[0,0,1]
	v_add_f16_e32 v49, v55, v49
	v_mul_f16_e32 v55, 0xbbb2, v29
	v_add_f16_e32 v21, v42, v21
	v_pk_fma_f16 v38, 0xb461b8d2, v32, v33 op_sel_hi:[1,0,1]
	v_sub_f16_e32 v2, v2, v27
	v_pk_mul_f16 v27, 0x3b29b836, v29 op_sel_hi:[1,0]
	v_add_f16_sdwa v29, v42, v46 dst_sel:DWORD dst_unused:UNUSED_PAD src0_sel:WORD_1 src1_sel:DWORD
	v_pk_add_f16 v22, v36, v22
	v_pk_fma_f16 v32, 0xb461b8d2, v32, v33 op_sel_hi:[1,0,1] neg_lo:[0,0,1] neg_hi:[0,0,1]
	v_add_f16_e32 v21, v38, v21
	v_pk_fma_f16 v33, 0x3722bacd, v28, v27 op_sel_hi:[1,0,1]
	v_add_f16_e32 v0, v0, v1
	v_pk_mul_f16 v1, 0x35c8b1e1, v2 op_sel_hi:[1,0]
	v_add_f16_sdwa v29, v38, v29 dst_sel:DWORD dst_unused:UNUSED_PAD src0_sel:WORD_1 src1_sel:DWORD
	v_pk_add_f16 v22, v32, v22
	v_pk_fma_f16 v27, 0x3722bacd, v28, v27 op_sel_hi:[1,0,1] neg_lo:[0,0,1] neg_hi:[0,0,1]
	v_mul_f16_e32 v36, 0xb836, v2
	v_fmamk_f16 v56, v28, 0xb461, v55
	v_fma_f16 v43, v28, 0xb461, -v55
	v_add_f16_e32 v21, v33, v21
	v_pk_fma_f16 v28, 0x3b76bbdd, v0, v1 op_sel_hi:[1,0,1]
	v_add_f16_sdwa v29, v33, v29 dst_sel:DWORD dst_unused:UNUSED_PAD src0_sel:WORD_1 src1_sel:DWORD
	v_pk_add_f16 v22, v27, v22
	v_pk_fma_f16 v1, 0x3b76bbdd, v0, v1 op_sel_hi:[1,0,1] neg_lo:[0,0,1] neg_hi:[0,0,1]
	v_fmamk_f16 v33, v0, 0xbacd, v36
	v_fma_f16 v36, v0, 0xbacd, -v36
	v_add_f16_e32 v27, v28, v21
	v_add_f16_sdwa v28, v28, v29 dst_sel:DWORD dst_unused:UNUSED_PAD src0_sel:WORD_1 src1_sel:DWORD
	v_mul_f16_e32 v29, 0x3964, v2
	v_pk_add_f16 v21, v1, v22
	v_mul_f16_e32 v22, 0xba62, v2
	v_add_f16_e32 v30, v36, v30
	v_mul_f16_e32 v36, 0x3b29, v2
	v_add_f16_e32 v32, v43, v39
	v_add_f16_e32 v1, v33, v37
	v_fmamk_f16 v33, v0, 0x39e9, v29
	v_fma_f16 v29, v0, 0x39e9, -v29
	v_fmamk_f16 v37, v0, 0xb8d2, v22
	v_fma_f16 v22, v0, 0xb8d2, -v22
	v_fmamk_f16 v38, v0, 0x3722, v36
	v_mul_f16_e32 v39, 0xbbb2, v2
	v_mul_f16_e32 v2, 0x3bf7, v2
	v_fma_f16 v36, v0, 0x3722, -v36
	v_add_f16_e32 v50, v56, v50
	v_add_f16_e32 v29, v29, v41
	v_add_f16_e32 v40, v22, v51
	v_add_f16_e32 v22, v38, v48
	v_fmamk_f16 v38, v0, 0xb461, v39
	v_fma_f16 v39, v0, 0xb461, -v39
	v_fmamk_f16 v41, v0, 0x2de8, v2
	v_fma_f16 v0, v0, 0x2de8, -v2
	v_add_f16_e32 v2, v36, v49
	v_add_f16_e32 v33, v33, v57
	;; [unrolled: 1-line block ×7, first 2 shown]
	s_waitcnt lgkmcnt(0)
	s_barrier
	buffer_gl0_inv
	ds_write_b16 v34, v44
	ds_write_b16 v34, v27 offset:34
	ds_write_b16 v34, v28 offset:68
	;; [unrolled: 1-line block ×10, first 2 shown]
	v_lshrrev_b32_e32 v22, 16, v21
	ds_write_b16 v34, v2 offset:374
	ds_write_b16 v34, v40 offset:408
	;; [unrolled: 1-line block ×6, first 2 shown]
	s_waitcnt lgkmcnt(0)
	s_barrier
	buffer_gl0_inv
	ds_read_u16 v30, v35 offset:680
	ds_read_u16 v34, v35 offset:782
	ds_read_u16 v33, v35
	ds_read_u16 v28, v35 offset:102
	ds_read_u16 v29, v35 offset:204
	;; [unrolled: 1-line block ×12, first 2 shown]
                                        ; implicit-def: $vgpr27
	s_and_saveexec_b32 s1, s0
	s_cbranch_execz .LBB0_17
; %bb.16:
	ds_read_u16 v22, v35 offset:510
	ds_read_u16 v21, v35 offset:1088
	;; [unrolled: 1-line block ×3, first 2 shown]
.LBB0_17:
	s_or_b32 exec_lo, exec_lo, s1
	s_and_saveexec_b32 s1, vcc_lo
	s_cbranch_execz .LBB0_20
; %bb.18:
	v_lshlrev_b32_e32 v44, 1, v20
	v_mov_b32_e32 v1, 0
	v_add_nc_u32_e32 v55, 51, v20
	v_mul_lo_u32 v35, s2, v19
	v_add_nc_u32_e32 v62, 0xcc, v20
	v_add_nc_u32_e32 v0, 0x198, v44
	v_mov_b32_e32 v45, v1
	v_mul_hi_u32 v63, 0xe2c4a689, v55
	v_add_nc_u32_e32 v60, 0x66, v20
	v_add_nc_u32_e32 v61, 0x99, v20
	v_lshlrev_b64 v[46:47], 2, v[0:1]
	v_lshlrev_b64 v[48:49], 2, v[44:45]
	v_add_nc_u32_e32 v0, 0x132, v44
	v_mul_hi_u32 v64, 0xe2c4a689, v60
	v_mul_hi_u32 v65, 0xe2c4a689, v61
	v_lshlrev_b64 v[16:17], 2, v[16:17]
	v_add_co_u32 v45, vcc_lo, s8, v46
	v_add_co_ci_u32_e32 v46, vcc_lo, s9, v47, vcc_lo
	v_add_co_u32 v47, vcc_lo, s8, v48
	v_add_co_ci_u32_e32 v48, vcc_lo, s9, v49, vcc_lo
	v_lshlrev_b64 v[49:50], 2, v[0:1]
	v_add_nc_u32_e32 v0, 0xcc, v44
	s_clause 0x1
	global_load_dwordx2 v[45:46], v[45:46], off offset:1088
	global_load_dwordx2 v[47:48], v[47:48], off offset:1088
	v_lshrrev_b32_e32 v68, 8, v64
	v_lshrrev_b32_e32 v72, 8, v65
	v_mov_b32_e32 v56, v1
	v_lshlrev_b64 v[51:52], 2, v[0:1]
	v_add_nc_u32_e32 v0, 0x66, v44
	v_add_co_u32 v49, vcc_lo, s8, v49
	v_add_co_ci_u32_e32 v50, vcc_lo, s9, v50, vcc_lo
	v_lshlrev_b64 v[53:54], 2, v[0:1]
	v_add_co_u32 v51, vcc_lo, s8, v51
	global_load_dwordx2 v[49:50], v[49:50], off offset:1088
	v_add_co_ci_u32_e32 v52, vcc_lo, s9, v52, vcc_lo
	v_add_co_u32 v53, vcc_lo, s8, v53
	v_add_co_ci_u32_e32 v54, vcc_lo, s9, v54, vcc_lo
	global_load_dwordx2 v[51:52], v[51:52], off offset:1088
	v_mul_hi_u32 v44, 0xe2c4a689, v20
	v_mul_lo_u32 v0, s3, v18
	global_load_dwordx2 v[53:54], v[53:54], off offset:1088
	v_mad_u64_u32 v[18:19], null, s2, v18, 0
	v_mul_u32_u24_e32 v64, 0x121, v72
	v_mov_b32_e32 v57, v1
	v_mov_b32_e32 v58, v1
	v_lshrrev_b32_e32 v44, 8, v44
	v_mov_b32_e32 v59, v1
	v_sub_nc_u32_e32 v73, v61, v64
	v_add3_u32 v19, v19, v35, v0
	v_mul_hi_u32 v0, 0xe2c4a689, v62
	v_mul_u32_u24_e32 v35, 0x121, v44
	v_lshrrev_b32_e32 v44, 8, v63
	v_mul_u32_u24_e32 v63, 0x121, v68
	v_lshlrev_b64 v[18:19], 2, v[18:19]
	v_add_nc_u32_e32 v2, 0xff, v20
	v_lshrrev_b32_e32 v78, 8, v0
	v_sub_nc_u32_e32 v0, v20, v35
	v_mul_u32_u24_e32 v35, 0x121, v44
	v_add_co_u32 v18, s1, s14, v18
	v_add_co_ci_u32_e64 v19, s1, s15, v19, s1
	v_lshlrev_b32_e32 v66, 2, v0
	v_sub_nc_u32_e32 v0, v55, v35
	v_sub_nc_u32_e32 v35, v60, v63
	v_add_co_u32 v16, s1, v18, v16
	v_add_co_ci_u32_e64 v17, s1, v19, v17, s1
	v_mad_u32_u24 v0, 0x363, v44, v0
	v_mul_u32_u24_e32 v65, 0x121, v78
	v_add_co_u32 v18, s1, v16, v66
	v_add_co_ci_u32_e64 v19, s1, 0, v17, s1
	v_lshlrev_b64 v[60:61], 2, v[0:1]
	v_add_nc_u32_e32 v55, 0x121, v0
	v_add_nc_u32_e32 v0, 0x242, v0
	v_sub_nc_u32_e32 v79, v62, v65
	v_add_co_u32 v62, s1, 0x800, v18
	v_lshlrev_b64 v[64:65], 2, v[55:56]
	v_lshlrev_b64 v[66:67], 2, v[0:1]
	v_mad_u32_u24 v0, 0x363, v68, v35
	v_add_co_ci_u32_e64 v63, s1, 0, v19, s1
	v_add_co_u32 v60, s1, v16, v60
	v_lshlrev_b64 v[68:69], 2, v[0:1]
	v_add_nc_u32_e32 v56, 0x121, v0
	v_add_nc_u32_e32 v0, 0x242, v0
	v_add_co_ci_u32_e64 v61, s1, v17, v61, s1
	v_add_co_u32 v64, s1, v16, v64
	v_lshlrev_b64 v[70:71], 2, v[0:1]
	v_mad_u32_u24 v0, 0x363, v72, v73
	v_lshlrev_b64 v[55:56], 2, v[56:57]
	v_add_co_ci_u32_e64 v65, s1, v17, v65, s1
	v_add_co_u32 v66, s1, v16, v66
	v_lshlrev_b64 v[72:73], 2, v[0:1]
	v_add_nc_u32_e32 v57, 0x121, v0
	v_add_nc_u32_e32 v0, 0x242, v0
	v_add_co_ci_u32_e64 v67, s1, v17, v67, s1
	v_add_co_u32 v68, s1, v16, v68
	v_lshlrev_b64 v[76:77], 2, v[0:1]
	v_mad_u32_u24 v0, 0x363, v78, v79
	v_lshlrev_b64 v[74:75], 2, v[57:58]
	v_add_co_ci_u32_e64 v69, s1, v17, v69, s1
	v_add_co_u32 v55, s1, v16, v55
	v_lshlrev_b64 v[78:79], 2, v[0:1]
	v_add_nc_u32_e32 v58, 0x121, v0
	v_add_nc_u32_e32 v0, 0x242, v0
	v_add_co_ci_u32_e64 v56, s1, v17, v56, s1
	v_add_co_u32 v70, s1, v16, v70
	v_lshlrev_b64 v[57:58], 2, v[58:59]
	v_lshlrev_b64 v[80:81], 2, v[0:1]
	v_add_co_ci_u32_e64 v71, s1, v17, v71, s1
	v_add_co_u32 v72, s1, v16, v72
	v_add_co_ci_u32_e64 v73, s1, v17, v73, s1
	v_add_co_u32 v74, s1, v16, v74
	;; [unrolled: 2-line block ×4, first 2 shown]
	v_add_co_ci_u32_e64 v79, s1, v17, v79, s1
	v_cmp_gt_u32_e32 vcc_lo, 0x121, v2
	v_add_co_u32 v57, s1, v16, v57
	v_add_co_ci_u32_e64 v58, s1, v17, v58, s1
	v_add_co_u32 v80, s1, v16, v80
	v_add_co_ci_u32_e64 v81, s1, v17, v81, s1
	s_waitcnt vmcnt(4) lgkmcnt(0)
	v_mul_f16_sdwa v0, v43, v45 dst_sel:DWORD dst_unused:UNUSED_PAD src0_sel:DWORD src1_sel:WORD_1
	v_mul_f16_sdwa v35, v42, v46 dst_sel:DWORD dst_unused:UNUSED_PAD src0_sel:DWORD src1_sel:WORD_1
	;; [unrolled: 1-line block ×4, first 2 shown]
	s_waitcnt vmcnt(3)
	v_mul_f16_sdwa v82, v40, v47 dst_sel:DWORD dst_unused:UNUSED_PAD src0_sel:DWORD src1_sel:WORD_1
	v_mul_f16_sdwa v83, v41, v48 dst_sel:DWORD dst_unused:UNUSED_PAD src0_sel:DWORD src1_sel:WORD_1
	;; [unrolled: 1-line block ×4, first 2 shown]
	v_fma_f16 v0, v23, v45, -v0
	v_fma_f16 v23, v26, v46, -v35
	v_fmac_f16_e32 v44, v43, v45
	v_fmac_f16_e32 v59, v42, v46
	v_fma_f16 v24, v24, v47, -v82
	v_fma_f16 v25, v25, v48, -v83
	s_waitcnt vmcnt(2)
	v_mul_f16_sdwa v26, v38, v49 dst_sel:DWORD dst_unused:UNUSED_PAD src0_sel:DWORD src1_sel:WORD_1
	v_mul_f16_sdwa v35, v39, v50 dst_sel:DWORD dst_unused:UNUSED_PAD src0_sel:DWORD src1_sel:WORD_1
	;; [unrolled: 1-line block ×4, first 2 shown]
	v_fmac_f16_e32 v84, v40, v47
	v_fmac_f16_e32 v85, v41, v48
	v_add_f16_e32 v41, v44, v59
	v_add_f16_e32 v46, v0, v23
	v_fma_f16 v14, v14, v49, -v26
	v_fma_f16 v15, v15, v50, -v35
	v_fmac_f16_e32 v42, v38, v49
	v_fmac_f16_e32 v43, v39, v50
	s_waitcnt vmcnt(1)
	v_mul_f16_sdwa v26, v34, v51 dst_sel:DWORD dst_unused:UNUSED_PAD src0_sel:DWORD src1_sel:WORD_1
	v_mul_f16_sdwa v35, v36, v52 dst_sel:DWORD dst_unused:UNUSED_PAD src0_sel:DWORD src1_sel:WORD_1
	;; [unrolled: 1-line block ×4, first 2 shown]
	v_sub_f16_e32 v40, v0, v23
	v_add_f16_e32 v45, v37, v44
	v_add_f16_e32 v0, v13, v0
	v_sub_f16_e32 v44, v44, v59
	v_sub_f16_e32 v47, v24, v25
	v_add_f16_e32 v48, v84, v85
	v_add_f16_e32 v49, v24, v25
	;; [unrolled: 1-line block ×4, first 2 shown]
	v_fma_f16 v37, -0.5, v41, v37
	v_fma_f16 v13, -0.5, v46, v13
	v_add_f16_e32 v46, v32, v42
	v_fma_f16 v11, v11, v51, -v26
	v_fma_f16 v12, v12, v52, -v35
	v_fmac_f16_e32 v38, v34, v51
	v_fmac_f16_e32 v39, v36, v52
	s_waitcnt vmcnt(0)
	v_mul_f16_sdwa v26, v30, v53 dst_sel:DWORD dst_unused:UNUSED_PAD src0_sel:DWORD src1_sel:WORD_1
	v_mul_f16_sdwa v34, v31, v54 dst_sel:DWORD dst_unused:UNUSED_PAD src0_sel:DWORD src1_sel:WORD_1
	;; [unrolled: 1-line block ×4, first 2 shown]
	v_add_f16_e32 v41, v45, v59
	v_add_f16_e32 v0, v0, v23
	v_sub_f16_e32 v23, v14, v15
	v_add_f16_e32 v45, v42, v43
	v_add_f16_e32 v59, v14, v15
	;; [unrolled: 1-line block ×3, first 2 shown]
	v_sub_f16_e32 v50, v84, v85
	v_sub_f16_e32 v42, v42, v43
	v_fma_f16 v33, -0.5, v48, v33
	v_fma_f16 v10, -0.5, v49, v10
	v_add_f16_e32 v48, v82, v85
	v_add_f16_e32 v24, v24, v25
	v_fmamk_f16 v25, v40, 0x3aee, v37
	v_fmac_f16_e32 v37, 0xbaee, v40
	v_fmamk_f16 v40, v44, 0xbaee, v13
	v_fmac_f16_e32 v13, 0x3aee, v44
	v_add_f16_e32 v43, v46, v43
	v_add_f16_e32 v44, v38, v39
	v_sub_f16_e32 v46, v38, v39
	v_add_f16_e32 v38, v29, v38
	v_fma_f16 v7, v7, v53, -v26
	v_fma_f16 v9, v9, v54, -v34
	v_fmac_f16_e32 v35, v30, v53
	v_fmac_f16_e32 v36, v31, v54
	v_fma_f16 v32, -0.5, v45, v32
	v_add_f16_e32 v14, v14, v15
	v_sub_f16_e32 v15, v11, v12
	v_add_f16_e32 v45, v11, v12
	v_add_f16_e32 v11, v6, v11
	v_fmamk_f16 v26, v47, 0x3aee, v33
	v_fmamk_f16 v30, v50, 0xbaee, v10
	v_fmac_f16_e32 v33, 0xbaee, v47
	v_fmac_f16_e32 v10, 0x3aee, v50
	v_pack_b32_f16 v24, v24, v48
	v_fma_f16 v29, -0.5, v44, v29
	v_add_f16_e32 v34, v38, v39
	v_add_f16_e32 v38, v35, v36
	;; [unrolled: 1-line block ×3, first 2 shown]
	v_pack_b32_f16 v0, v0, v41
	v_add_f16_e32 v11, v11, v12
	v_sub_f16_e32 v12, v7, v9
	v_sub_f16_e32 v41, v35, v36
	v_add_f16_e32 v35, v28, v35
	v_add_f16_e32 v7, v3, v7
	global_store_dword v[18:19], v24, off
	v_pack_b32_f16 v10, v10, v33
	v_pack_b32_f16 v24, v30, v26
	v_fmamk_f16 v26, v15, 0x3aee, v29
	v_fmac_f16_e32 v29, 0xbaee, v15
	v_fma_f16 v15, -0.5, v38, v28
	v_fma_f16 v3, -0.5, v39, v3
	;; [unrolled: 1-line block ×4, first 2 shown]
	v_add_f16_e32 v28, v35, v36
	v_add_f16_e32 v7, v7, v9
	global_store_dword v[18:19], v10, off offset:1156
	global_store_dword v[62:63], v24, off offset:264
	v_fmamk_f16 v9, v12, 0x3aee, v15
	v_fmamk_f16 v10, v41, 0xbaee, v3
	v_fmac_f16_e32 v15, 0xbaee, v12
	v_fmac_f16_e32 v3, 0x3aee, v41
	v_fmamk_f16 v30, v46, 0xbaee, v6
	v_fmac_f16_e32 v6, 0x3aee, v46
	v_fmamk_f16 v31, v23, 0x3aee, v32
	;; [unrolled: 2-line block ×3, first 2 shown]
	v_fmac_f16_e32 v8, 0x3aee, v42
	v_pack_b32_f16 v7, v7, v28
	v_pack_b32_f16 v3, v3, v15
	;; [unrolled: 1-line block ×11, first 2 shown]
	global_store_dword v[60:61], v7, off
	global_store_dword v[64:65], v3, off
	;; [unrolled: 1-line block ×12, first 2 shown]
	s_and_b32 exec_lo, exec_lo, vcc_lo
	s_cbranch_execz .LBB0_20
; %bb.19:
	v_mov_b32_e32 v0, 0xff
	v_mov_b32_e32 v3, v1
	v_lshrrev_b32_e32 v10, 16, v4
	v_cndmask_b32_e64 v0, 0xffffffde, v0, s0
	v_lshlrev_b64 v[2:3], 2, v[2:3]
	v_add_lshl_u32 v0, v20, v0, 1
	v_lshlrev_b64 v[6:7], 2, v[0:1]
	v_add_nc_u32_e32 v0, 0x220, v20
	v_lshlrev_b64 v[8:9], 2, v[0:1]
	v_add_co_u32 v6, vcc_lo, s8, v6
	v_add_co_ci_u32_e32 v7, vcc_lo, s9, v7, vcc_lo
	v_add_co_u32 v2, vcc_lo, v16, v2
	v_add_co_ci_u32_e32 v3, vcc_lo, v17, v3, vcc_lo
	global_load_dwordx2 v[6:7], v[6:7], off offset:1088
	v_add_nc_u32_e32 v0, 0x341, v20
	v_lshlrev_b64 v[0:1], 2, v[0:1]
	s_waitcnt vmcnt(0)
	v_mul_f16_sdwa v11, v21, v6 dst_sel:DWORD dst_unused:UNUSED_PAD src0_sel:DWORD src1_sel:WORD_1
	v_mul_f16_sdwa v12, v4, v6 dst_sel:DWORD dst_unused:UNUSED_PAD src0_sel:DWORD src1_sel:WORD_1
	;; [unrolled: 1-line block ×4, first 2 shown]
	v_fma_f16 v11, v4, v6, -v11
	v_fmac_f16_e32 v12, v21, v6
	v_fma_f16 v6, v5, v7, -v13
	v_fmac_f16_e32 v14, v27, v7
	v_add_co_u32 v4, vcc_lo, v16, v8
	v_add_co_ci_u32_e32 v5, vcc_lo, v17, v9, vcc_lo
	v_add_f16_e32 v7, v11, v6
	v_add_f16_e32 v9, v12, v14
	;; [unrolled: 1-line block ×3, first 2 shown]
	v_sub_f16_e32 v13, v12, v14
	v_add_f16_e32 v12, v22, v12
	v_fmac_f16_e32 v10, -0.5, v7
	v_sub_f16_e32 v7, v11, v6
	v_fmac_f16_e32 v22, -0.5, v9
	v_add_f16_e32 v6, v8, v6
	v_add_f16_e32 v8, v12, v14
	v_fmamk_f16 v9, v13, 0x3aee, v10
	v_fmac_f16_e32 v10, 0xbaee, v13
	v_fmamk_f16 v11, v7, 0xbaee, v22
	v_fmac_f16_e32 v22, 0x3aee, v7
	v_add_co_u32 v0, vcc_lo, v16, v0
	v_pack_b32_f16 v6, v6, v8
	v_pack_b32_f16 v7, v9, v11
	v_add_co_ci_u32_e32 v1, vcc_lo, v17, v1, vcc_lo
	v_pack_b32_f16 v8, v10, v22
	global_store_dword v[2:3], v6, off
	global_store_dword v[4:5], v7, off
	;; [unrolled: 1-line block ×3, first 2 shown]
.LBB0_20:
	s_endpgm
	.section	.rodata,"a",@progbits
	.p2align	6, 0x0
	.amdhsa_kernel fft_rtc_fwd_len867_factors_17_17_3_wgs_51_tpt_51_halfLds_half_op_CI_CI_unitstride_sbrr_dirReg
		.amdhsa_group_segment_fixed_size 0
		.amdhsa_private_segment_fixed_size 0
		.amdhsa_kernarg_size 104
		.amdhsa_user_sgpr_count 6
		.amdhsa_user_sgpr_private_segment_buffer 1
		.amdhsa_user_sgpr_dispatch_ptr 0
		.amdhsa_user_sgpr_queue_ptr 0
		.amdhsa_user_sgpr_kernarg_segment_ptr 1
		.amdhsa_user_sgpr_dispatch_id 0
		.amdhsa_user_sgpr_flat_scratch_init 0
		.amdhsa_user_sgpr_private_segment_size 0
		.amdhsa_wavefront_size32 1
		.amdhsa_uses_dynamic_stack 0
		.amdhsa_system_sgpr_private_segment_wavefront_offset 0
		.amdhsa_system_sgpr_workgroup_id_x 1
		.amdhsa_system_sgpr_workgroup_id_y 0
		.amdhsa_system_sgpr_workgroup_id_z 0
		.amdhsa_system_sgpr_workgroup_info 0
		.amdhsa_system_vgpr_workitem_id 0
		.amdhsa_next_free_vgpr 88
		.amdhsa_next_free_sgpr 27
		.amdhsa_reserve_vcc 1
		.amdhsa_reserve_flat_scratch 0
		.amdhsa_float_round_mode_32 0
		.amdhsa_float_round_mode_16_64 0
		.amdhsa_float_denorm_mode_32 3
		.amdhsa_float_denorm_mode_16_64 3
		.amdhsa_dx10_clamp 1
		.amdhsa_ieee_mode 1
		.amdhsa_fp16_overflow 0
		.amdhsa_workgroup_processor_mode 1
		.amdhsa_memory_ordered 1
		.amdhsa_forward_progress 0
		.amdhsa_shared_vgpr_count 0
		.amdhsa_exception_fp_ieee_invalid_op 0
		.amdhsa_exception_fp_denorm_src 0
		.amdhsa_exception_fp_ieee_div_zero 0
		.amdhsa_exception_fp_ieee_overflow 0
		.amdhsa_exception_fp_ieee_underflow 0
		.amdhsa_exception_fp_ieee_inexact 0
		.amdhsa_exception_int_div_zero 0
	.end_amdhsa_kernel
	.text
.Lfunc_end0:
	.size	fft_rtc_fwd_len867_factors_17_17_3_wgs_51_tpt_51_halfLds_half_op_CI_CI_unitstride_sbrr_dirReg, .Lfunc_end0-fft_rtc_fwd_len867_factors_17_17_3_wgs_51_tpt_51_halfLds_half_op_CI_CI_unitstride_sbrr_dirReg
                                        ; -- End function
	.section	.AMDGPU.csdata,"",@progbits
; Kernel info:
; codeLenInByte = 13708
; NumSgprs: 29
; NumVgprs: 88
; ScratchSize: 0
; MemoryBound: 0
; FloatMode: 240
; IeeeMode: 1
; LDSByteSize: 0 bytes/workgroup (compile time only)
; SGPRBlocks: 3
; VGPRBlocks: 10
; NumSGPRsForWavesPerEU: 29
; NumVGPRsForWavesPerEU: 88
; Occupancy: 10
; WaveLimiterHint : 1
; COMPUTE_PGM_RSRC2:SCRATCH_EN: 0
; COMPUTE_PGM_RSRC2:USER_SGPR: 6
; COMPUTE_PGM_RSRC2:TRAP_HANDLER: 0
; COMPUTE_PGM_RSRC2:TGID_X_EN: 1
; COMPUTE_PGM_RSRC2:TGID_Y_EN: 0
; COMPUTE_PGM_RSRC2:TGID_Z_EN: 0
; COMPUTE_PGM_RSRC2:TIDIG_COMP_CNT: 0
	.text
	.p2alignl 6, 3214868480
	.fill 48, 4, 3214868480
	.type	__hip_cuid_1b258563490e2462,@object ; @__hip_cuid_1b258563490e2462
	.section	.bss,"aw",@nobits
	.globl	__hip_cuid_1b258563490e2462
__hip_cuid_1b258563490e2462:
	.byte	0                               ; 0x0
	.size	__hip_cuid_1b258563490e2462, 1

	.ident	"AMD clang version 19.0.0git (https://github.com/RadeonOpenCompute/llvm-project roc-6.4.0 25133 c7fe45cf4b819c5991fe208aaa96edf142730f1d)"
	.section	".note.GNU-stack","",@progbits
	.addrsig
	.addrsig_sym __hip_cuid_1b258563490e2462
	.amdgpu_metadata
---
amdhsa.kernels:
  - .args:
      - .actual_access:  read_only
        .address_space:  global
        .offset:         0
        .size:           8
        .value_kind:     global_buffer
      - .offset:         8
        .size:           8
        .value_kind:     by_value
      - .actual_access:  read_only
        .address_space:  global
        .offset:         16
        .size:           8
        .value_kind:     global_buffer
      - .actual_access:  read_only
        .address_space:  global
        .offset:         24
        .size:           8
        .value_kind:     global_buffer
      - .actual_access:  read_only
        .address_space:  global
        .offset:         32
        .size:           8
        .value_kind:     global_buffer
      - .offset:         40
        .size:           8
        .value_kind:     by_value
      - .actual_access:  read_only
        .address_space:  global
        .offset:         48
        .size:           8
        .value_kind:     global_buffer
      - .actual_access:  read_only
        .address_space:  global
        .offset:         56
        .size:           8
        .value_kind:     global_buffer
      - .offset:         64
        .size:           4
        .value_kind:     by_value
      - .actual_access:  read_only
        .address_space:  global
        .offset:         72
        .size:           8
        .value_kind:     global_buffer
      - .actual_access:  read_only
        .address_space:  global
        .offset:         80
        .size:           8
        .value_kind:     global_buffer
      - .actual_access:  read_only
        .address_space:  global
        .offset:         88
        .size:           8
        .value_kind:     global_buffer
      - .actual_access:  write_only
        .address_space:  global
        .offset:         96
        .size:           8
        .value_kind:     global_buffer
    .group_segment_fixed_size: 0
    .kernarg_segment_align: 8
    .kernarg_segment_size: 104
    .language:       OpenCL C
    .language_version:
      - 2
      - 0
    .max_flat_workgroup_size: 51
    .name:           fft_rtc_fwd_len867_factors_17_17_3_wgs_51_tpt_51_halfLds_half_op_CI_CI_unitstride_sbrr_dirReg
    .private_segment_fixed_size: 0
    .sgpr_count:     29
    .sgpr_spill_count: 0
    .symbol:         fft_rtc_fwd_len867_factors_17_17_3_wgs_51_tpt_51_halfLds_half_op_CI_CI_unitstride_sbrr_dirReg.kd
    .uniform_work_group_size: 1
    .uses_dynamic_stack: false
    .vgpr_count:     88
    .vgpr_spill_count: 0
    .wavefront_size: 32
    .workgroup_processor_mode: 1
amdhsa.target:   amdgcn-amd-amdhsa--gfx1030
amdhsa.version:
  - 1
  - 2
...

	.end_amdgpu_metadata
